;; amdgpu-corpus repo=ROCm/rocFFT kind=compiled arch=gfx950 opt=O3
	.text
	.amdgcn_target "amdgcn-amd-amdhsa--gfx950"
	.amdhsa_code_object_version 6
	.protected	bluestein_single_back_len16384_dim1_half_op_CI_CI ; -- Begin function bluestein_single_back_len16384_dim1_half_op_CI_CI
	.globl	bluestein_single_back_len16384_dim1_half_op_CI_CI
	.p2align	8
	.type	bluestein_single_back_len16384_dim1_half_op_CI_CI,@function
bluestein_single_back_len16384_dim1_half_op_CI_CI: ; @bluestein_single_back_len16384_dim1_half_op_CI_CI
; %bb.0:
	s_load_dwordx4 s[16:19], s[0:1], 0x28
	s_mov_b32 s3, 0
	s_waitcnt lgkmcnt(0)
	v_mov_b32_e32 v2, s16
	v_mov_b32_e32 v3, s17
	v_cmp_lt_u64_e32 vcc, s[2:3], v[2:3]
	s_and_saveexec_b64 s[4:5], vcc
	s_cbranch_execz .LBB0_2
; %bb.1:
	s_load_dwordx4 s[4:7], s[0:1], 0x18
	s_load_dwordx4 s[8:11], s[0:1], 0x0
	v_mov_b64_e32 v[62:63], s[2:3]
	v_mov_b32_e32 v2, s18
	v_mov_b32_e32 v3, s19
	s_waitcnt lgkmcnt(0)
	s_load_dwordx4 s[12:15], s[4:5], 0x0
	s_add_u32 s2, s8, 0x10000
	s_addc_u32 s3, s9, 0
	v_lshlrev_b32_e32 v1, 2, v0
	global_load_dword v105, v1, s[8:9]
	s_waitcnt lgkmcnt(0)
	v_mad_u64_u32 v[4:5], s[4:5], s14, v62, 0
	v_mov_b32_e32 v6, v5
	v_mad_u64_u32 v[6:7], s[4:5], s15, v62, v[6:7]
	v_mov_b32_e32 v5, v6
	v_mad_u64_u32 v[6:7], s[4:5], s12, v0, 0
	v_mov_b32_e32 v8, v7
	v_mad_u64_u32 v[8:9], s[4:5], s13, v0, v[8:9]
	v_mov_b32_e32 v7, v8
	v_lshl_add_u64 v[2:3], v[4:5], 2, v[2:3]
	v_lshl_add_u64 v[2:3], v[6:7], 2, v[2:3]
	s_lshl_b64 s[14:15], s[12:13], 13
	global_load_dword v4, v[2:3], off
	v_lshl_add_u64 v[2:3], v[2:3], 0, s[14:15]
	v_or_b32_e32 v72, 0x2000, v1
	global_load_dword v103, v72, s[8:9]
	global_load_dword v5, v[2:3], off
	v_lshl_add_u64 v[2:3], v[2:3], 0, s[14:15]
	global_load_dword v6, v[2:3], off
	v_or_b32_e32 v73, 0x4000, v1
	global_load_dword v100, v73, s[8:9]
	v_lshl_add_u64 v[2:3], v[2:3], 0, s[14:15]
	v_or_b32_e32 v76, 0x6000, v1
	global_load_dword v98, v76, s[8:9]
	global_load_dword v7, v[2:3], off
	v_lshl_add_u64 v[2:3], v[2:3], 0, s[14:15]
	v_or_b32_e32 v77, 0x8000, v1
	global_load_dword v8, v[2:3], off
	global_load_dword v96, v77, s[8:9]
	v_lshl_add_u64 v[2:3], v[2:3], 0, s[14:15]
	global_load_dword v9, v[2:3], off
	v_or_b32_e32 v79, 0xa000, v1
	global_load_dword v61, v79, s[8:9]
	v_lshl_add_u64 v[2:3], v[2:3], 0, s[14:15]
	v_or_b32_e32 v82, 0xc000, v1
	global_load_dword v10, v[2:3], off
	global_load_dword v53, v82, s[8:9]
	v_lshl_add_u64 v[2:3], v[2:3], 0, s[14:15]
	v_or_b32_e32 v64, 0xe000, v1
	global_load_dword v11, v[2:3], off
	v_mov_b32_e32 v21, 0xffff2800
	global_load_dword v57, v64, s[8:9]
	s_mul_i32 s4, s13, 0xffff2800
	s_sub_i32 s13, s4, s12
	v_mad_u64_u32 v[2:3], s[4:5], s12, v21, v[2:3]
	v_add_u32_e32 v3, s13, v3
	global_load_dword v12, v[2:3], off
	global_load_dword v63, v1, s[8:9] offset:2048
	v_lshl_add_u64 v[2:3], v[2:3], 0, s[14:15]
	v_or_b32_e32 v85, 0x2800, v1
	global_load_dword v13, v[2:3], off
	global_load_dword v101, v85, s[8:9]
	v_or_b32_e32 v86, 0x4800, v1
	v_lshl_add_u64 v[2:3], v[2:3], 0, s[14:15]
	v_or_b32_e32 v87, 0x6800, v1
	v_or_b32_e32 v88, 0x8800, v1
	s_load_dwordx4 s[4:7], s[6:7], 0x0
	global_load_dword v102, v86, s[8:9]
	global_load_dword v99, v87, s[8:9]
	global_load_dword v14, v[2:3], off
	global_load_dword v97, v88, s[8:9]
	v_lshl_add_u64 v[2:3], v[2:3], 0, s[14:15]
	global_load_dword v15, v[2:3], off
	v_lshl_add_u64 v[2:3], v[2:3], 0, s[14:15]
	global_load_dword v16, v[2:3], off
	v_lshl_add_u64 v[2:3], v[2:3], 0, s[14:15]
	v_or_b32_e32 v91, 0xa800, v1
	global_load_dword v104, v91, s[8:9]
	v_or_b32_e32 v92, 0xc800, v1
	global_load_dword v106, v92, s[8:9]
	v_or_b32_e32 v93, 0xe800, v1
	global_load_dword v107, v93, s[8:9]
	v_or_b32_e32 v78, 0x3000, v1
	v_or_b32_e32 v80, 0x5000, v1
	;; [unrolled: 1-line block ×6, first 2 shown]
	global_load_dword v108, v67, s[8:9]
	v_or_b32_e32 v65, 0xf000, v1
	global_load_dword v111, v65, s[8:9]
	v_or_b32_e32 v89, 0x3800, v1
	v_or_b32_e32 v74, 0x5800, v1
	global_load_dword v114, v74, s[8:9]
	v_or_b32_e32 v70, 0x7800, v1
	global_load_dword v117, v70, s[8:9]
	v_or_b32_e32 v66, 0x9800, v1
	v_or_b32_e32 v68, 0xb800, v1
	;; [unrolled: 1-line block ×4, first 2 shown]
	global_load_dword v123, v71, s[8:9]
	global_load_dword v121, v68, s[8:9]
	;; [unrolled: 1-line block ×4, first 2 shown]
	v_lshlrev_b32_e32 v125, 5, v0
	s_load_dwordx2 s[0:1], s[0:1], 0x38
	global_load_dword v115, v78, s[8:9]
	global_load_dword v118, v80, s[8:9]
	;; [unrolled: 1-line block ×6, first 2 shown]
	s_waitcnt vmcnt(41)
	v_lshrrev_b32_e32 v17, 16, v4
	v_mul_f16_sdwa v18, v105, v4 dst_sel:DWORD dst_unused:UNUSED_PAD src0_sel:WORD_1 src1_sel:DWORD
	v_mul_f16_sdwa v19, v105, v17 dst_sel:DWORD dst_unused:UNUSED_PAD src0_sel:WORD_1 src1_sel:DWORD
	v_fma_f16 v17, v105, v17, -v18
	s_waitcnt vmcnt(39)
	v_lshrrev_b32_e32 v18, 16, v5
	v_mul_f16_sdwa v20, v103, v5 dst_sel:DWORD dst_unused:UNUSED_PAD src0_sel:WORD_1 src1_sel:DWORD
	v_fma_f16 v4, v105, v4, v19
	v_mul_f16_sdwa v19, v103, v18 dst_sel:DWORD dst_unused:UNUSED_PAD src0_sel:WORD_1 src1_sel:DWORD
	v_fma_f16 v18, v103, v18, -v20
	s_waitcnt vmcnt(38)
	v_lshrrev_b32_e32 v20, 16, v6
	s_waitcnt vmcnt(37)
	v_mul_f16_sdwa v22, v100, v6 dst_sel:DWORD dst_unused:UNUSED_PAD src0_sel:WORD_1 src1_sel:DWORD
	v_pack_b32_f16 v4, v4, v17
	v_mul_f16_sdwa v17, v100, v20 dst_sel:DWORD dst_unused:UNUSED_PAD src0_sel:WORD_1 src1_sel:DWORD
	v_fma_f16 v5, v103, v5, v19
	v_fma_f16 v19, v100, v20, -v22
	v_fma_f16 v6, v100, v6, v17
	v_pack_b32_f16 v6, v6, v19
	global_load_dword v19, v[2:3], off
	s_waitcnt vmcnt(36)
	v_lshrrev_b32_e32 v20, 16, v7
	v_mul_f16_sdwa v22, v98, v7 dst_sel:DWORD dst_unused:UNUSED_PAD src0_sel:WORD_1 src1_sel:DWORD
	v_lshl_add_u64 v[2:3], v[2:3], 0, s[14:15]
	v_pack_b32_f16 v5, v5, v18
	v_mul_f16_sdwa v17, v98, v20 dst_sel:DWORD dst_unused:UNUSED_PAD src0_sel:WORD_1 src1_sel:DWORD
	v_fma_f16 v18, v98, v20, -v22
	global_load_dword v20, v[2:3], off
	v_fma_f16 v7, v98, v7, v17
	s_waitcnt vmcnt(36)
	v_lshrrev_b32_e32 v17, 16, v8
	v_pack_b32_f16 v7, v7, v18
	s_waitcnt vmcnt(35)
	v_mul_f16_sdwa v18, v96, v17 dst_sel:DWORD dst_unused:UNUSED_PAD src0_sel:WORD_1 src1_sel:DWORD
	v_fma_f16 v18, v96, v8, v18
	v_mul_f16_sdwa v8, v96, v8 dst_sel:DWORD dst_unused:UNUSED_PAD src0_sel:WORD_1 src1_sel:DWORD
	v_fma_f16 v8, v96, v17, -v8
	s_waitcnt vmcnt(34)
	v_lshrrev_b32_e32 v17, 16, v9
	v_pack_b32_f16 v8, v18, v8
	s_waitcnt vmcnt(33)
	v_mul_f16_sdwa v18, v61, v17 dst_sel:DWORD dst_unused:UNUSED_PAD src0_sel:WORD_1 src1_sel:DWORD
	v_fma_f16 v18, v61, v9, v18
	v_mul_f16_sdwa v9, v61, v9 dst_sel:DWORD dst_unused:UNUSED_PAD src0_sel:WORD_1 src1_sel:DWORD
	v_fma_f16 v9, v61, v17, -v9
	s_waitcnt vmcnt(32)
	v_lshrrev_b32_e32 v17, 16, v10
	v_pack_b32_f16 v9, v18, v9
	s_waitcnt vmcnt(31)
	v_mul_f16_sdwa v18, v53, v17 dst_sel:DWORD dst_unused:UNUSED_PAD src0_sel:WORD_1 src1_sel:DWORD
	v_fma_f16 v18, v53, v10, v18
	v_mul_f16_sdwa v10, v53, v10 dst_sel:DWORD dst_unused:UNUSED_PAD src0_sel:WORD_1 src1_sel:DWORD
	v_lshl_add_u64 v[2:3], v[2:3], 0, s[14:15]
	v_fma_f16 v10, v53, v17, -v10
	global_load_dword v17, v[2:3], off
	v_pack_b32_f16 v10, v18, v10
	s_waitcnt vmcnt(31)
	v_lshrrev_b32_e32 v18, 16, v11
	s_waitcnt vmcnt(30)
	v_mul_f16_sdwa v22, v57, v18 dst_sel:DWORD dst_unused:UNUSED_PAD src0_sel:WORD_1 src1_sel:DWORD
	v_fma_f16 v22, v57, v11, v22
	v_mul_f16_sdwa v11, v57, v11 dst_sel:DWORD dst_unused:UNUSED_PAD src0_sel:WORD_1 src1_sel:DWORD
	v_fma_f16 v11, v57, v18, -v11
	s_waitcnt vmcnt(29)
	v_lshrrev_b32_e32 v18, 16, v12
	v_pack_b32_f16 v11, v22, v11
	s_waitcnt vmcnt(28)
	v_mul_f16_sdwa v22, v63, v18 dst_sel:DWORD dst_unused:UNUSED_PAD src0_sel:WORD_1 src1_sel:DWORD
	v_fma_f16 v22, v63, v12, v22
	v_mul_f16_sdwa v12, v63, v12 dst_sel:DWORD dst_unused:UNUSED_PAD src0_sel:WORD_1 src1_sel:DWORD
	v_fma_f16 v12, v63, v18, -v12
	v_pack_b32_f16 v12, v22, v12
	ds_write2st64_b32 v1, v4, v12 offset1:8
	s_waitcnt vmcnt(27)
	v_lshrrev_b32_e32 v4, 16, v13
	s_waitcnt vmcnt(26)
	v_mul_f16_sdwa v12, v101, v4 dst_sel:DWORD dst_unused:UNUSED_PAD src0_sel:WORD_1 src1_sel:DWORD
	v_fma_f16 v12, v101, v13, v12
	v_mul_f16_sdwa v13, v101, v13 dst_sel:DWORD dst_unused:UNUSED_PAD src0_sel:WORD_1 src1_sel:DWORD
	v_fma_f16 v4, v101, v4, -v13
	v_mad_u64_u32 v[2:3], s[16:17], s12, v21, v[2:3]
	v_pack_b32_f16 v4, v12, v4
	v_add_u32_e32 v3, s13, v3
	v_or_b32_e32 v18, 0x400, v0
	ds_write2st64_b32 v1, v5, v4 offset0:32 offset1:40
	global_load_dword v5, v[2:3], off
	v_lshlrev_b32_e32 v75, 2, v18
	global_load_dword v112, v75, s[8:9]
	s_waitcnt vmcnt(25)
	v_lshrrev_b32_e32 v4, 16, v14
	v_mul_f16_sdwa v12, v102, v4 dst_sel:DWORD dst_unused:UNUSED_PAD src0_sel:WORD_1 src1_sel:DWORD
	v_mul_f16_sdwa v13, v102, v14 dst_sel:DWORD dst_unused:UNUSED_PAD src0_sel:WORD_1 src1_sel:DWORD
	v_fma_f16 v12, v102, v14, v12
	v_fma_f16 v4, v102, v4, -v13
	v_lshl_add_u64 v[2:3], v[2:3], 0, s[14:15]
	v_pack_b32_f16 v4, v12, v4
	global_load_dword v12, v[2:3], off
	ds_write2st64_b32 v1, v6, v4 offset0:64 offset1:72
	s_waitcnt vmcnt(24)
	v_lshrrev_b32_e32 v4, 16, v15
	v_mul_f16_sdwa v6, v99, v4 dst_sel:DWORD dst_unused:UNUSED_PAD src0_sel:WORD_1 src1_sel:DWORD
	v_mul_f16_sdwa v13, v99, v15 dst_sel:DWORD dst_unused:UNUSED_PAD src0_sel:WORD_1 src1_sel:DWORD
	v_fma_f16 v6, v99, v15, v6
	v_fma_f16 v4, v99, v4, -v13
	v_pack_b32_f16 v4, v6, v4
	ds_write2st64_b32 v1, v7, v4 offset0:96 offset1:104
	s_waitcnt vmcnt(23)
	v_lshrrev_b32_e32 v4, 16, v16
	v_mul_f16_sdwa v6, v97, v4 dst_sel:DWORD dst_unused:UNUSED_PAD src0_sel:WORD_1 src1_sel:DWORD
	v_mul_f16_sdwa v7, v97, v16 dst_sel:DWORD dst_unused:UNUSED_PAD src0_sel:WORD_1 src1_sel:DWORD
	v_fma_f16 v6, v97, v16, v6
	v_fma_f16 v4, v97, v4, -v7
	v_pack_b32_f16 v4, v6, v4
	v_lshl_add_u64 v[2:3], v[2:3], 0, s[14:15]
	ds_write2st64_b32 v1, v8, v4 offset0:128 offset1:136
	s_waitcnt vmcnt(5)
	v_lshrrev_b32_e32 v4, 16, v19
	global_load_dword v6, v[2:3], off
	v_mul_f16_sdwa v7, v104, v4 dst_sel:DWORD dst_unused:UNUSED_PAD src0_sel:WORD_1 src1_sel:DWORD
	v_mul_f16_sdwa v8, v104, v19 dst_sel:DWORD dst_unused:UNUSED_PAD src0_sel:WORD_1 src1_sel:DWORD
	v_fma_f16 v7, v104, v19, v7
	v_fma_f16 v4, v104, v4, -v8
	v_pack_b32_f16 v4, v7, v4
	v_lshl_add_u64 v[2:3], v[2:3], 0, s[14:15]
	ds_write2st64_b32 v1, v9, v4 offset0:160 offset1:168
	s_waitcnt vmcnt(5)
	v_lshrrev_b32_e32 v4, 16, v20
	global_load_dword v8, v[2:3], off
	v_mul_f16_sdwa v7, v106, v4 dst_sel:DWORD dst_unused:UNUSED_PAD src0_sel:WORD_1 src1_sel:DWORD
	v_mul_f16_sdwa v9, v106, v20 dst_sel:DWORD dst_unused:UNUSED_PAD src0_sel:WORD_1 src1_sel:DWORD
	v_fma_f16 v7, v106, v20, v7
	v_fma_f16 v4, v106, v4, -v9
	v_pack_b32_f16 v4, v7, v4
	v_lshl_add_u64 v[2:3], v[2:3], 0, s[14:15]
	ds_write2st64_b32 v1, v10, v4 offset0:192 offset1:200
	global_load_dword v4, v[2:3], off
	v_lshl_add_u64 v[2:3], v[2:3], 0, s[14:15]
	global_load_dword v10, v[2:3], off
	v_lshl_add_u64 v[2:3], v[2:3], 0, s[14:15]
	;; [unrolled: 2-line block ×3, first 2 shown]
	v_or_b32_e32 v19, 0x600, v0
	v_lshlrev_b32_e32 v90, 2, v19
	global_load_dword v109, v90, s[8:9]
	s_waitcnt vmcnt(9)
	v_lshrrev_b32_e32 v7, 16, v17
	v_mul_f16_sdwa v13, v107, v17 dst_sel:DWORD dst_unused:UNUSED_PAD src0_sel:WORD_1 src1_sel:DWORD
	v_mul_f16_sdwa v9, v107, v7 dst_sel:DWORD dst_unused:UNUSED_PAD src0_sel:WORD_1 src1_sel:DWORD
	v_fma_f16 v7, v107, v7, -v13
	global_load_dword v13, v[2:3], off
	v_mad_u64_u32 v[2:3], s[16:17], s12, v21, v[2:3]
	v_add_u32_e32 v3, s13, v3
	global_load_dword v15, v[2:3], off
	v_fma_f16 v9, v107, v17, v9
	v_lshl_add_u64 v[2:3], v[2:3], 0, s[14:15]
	v_pack_b32_f16 v7, v9, v7
	global_load_dword v9, v[2:3], off
	v_lshl_add_u64 v[2:3], v[2:3], 0, s[14:15]
	ds_write2st64_b32 v1, v11, v7 offset0:224 offset1:232
	global_load_dword v16, v[2:3], off
	v_lshl_add_u64 v[2:3], v[2:3], 0, s[14:15]
	s_mov_b32 s8, 0xb9a8
	s_movk_i32 s9, 0x39a8
	v_lshlrev_b32_e32 v129, 5, v18
	v_lshlrev_b32_e32 v126, 5, v19
	s_movk_i32 s16, 0x3f80
	s_waitcnt vmcnt(12)
	v_lshrrev_b32_e32 v7, 16, v5
	s_waitcnt vmcnt(11)
	v_mul_f16_sdwa v11, v112, v7 dst_sel:DWORD dst_unused:UNUSED_PAD src0_sel:WORD_1 src1_sel:DWORD
	v_fma_f16 v11, v112, v5, v11
	v_mul_f16_sdwa v5, v112, v5 dst_sel:DWORD dst_unused:UNUSED_PAD src0_sel:WORD_1 src1_sel:DWORD
	v_fma_f16 v5, v112, v7, -v5
	v_pack_b32_f16 v5, v11, v5
	global_load_dword v11, v[2:3], off
	v_lshl_add_u64 v[2:3], v[2:3], 0, s[14:15]
	global_load_dword v20, v[2:3], off
	s_waitcnt vmcnt(12)
	v_lshrrev_b32_e32 v7, 16, v12
	v_mul_f16_sdwa v17, v115, v7 dst_sel:DWORD dst_unused:UNUSED_PAD src0_sel:WORD_1 src1_sel:DWORD
	v_fma_f16 v17, v115, v12, v17
	v_mul_f16_sdwa v12, v115, v12 dst_sel:DWORD dst_unused:UNUSED_PAD src0_sel:WORD_1 src1_sel:DWORD
	v_fma_f16 v7, v115, v7, -v12
	v_lshl_add_u64 v[2:3], v[2:3], 0, s[14:15]
	v_pack_b32_f16 v7, v17, v7
	global_load_dword v17, v[2:3], off
	v_lshl_add_u64 v[2:3], v[2:3], 0, s[14:15]
	global_load_dword v23, v[2:3], off
	v_lshl_add_u64 v[2:3], v[2:3], 0, s[14:15]
	global_load_dword v2, v[2:3], off
	s_movk_i32 s14, 0x361f
	s_movk_i32 s15, 0x1f80
	s_waitcnt vmcnt(14)
	v_lshrrev_b32_e32 v12, 16, v6
	v_mul_f16_sdwa v22, v118, v12 dst_sel:DWORD dst_unused:UNUSED_PAD src0_sel:WORD_1 src1_sel:DWORD
	v_fma_f16 v22, v118, v6, v22
	v_mul_f16_sdwa v6, v118, v6 dst_sel:DWORD dst_unused:UNUSED_PAD src0_sel:WORD_1 src1_sel:DWORD
	v_fma_f16 v6, v118, v12, -v6
	v_pack_b32_f16 v6, v22, v6
	s_waitcnt vmcnt(13)
	v_lshrrev_b32_e32 v12, 16, v8
	v_mul_f16_sdwa v3, v119, v12 dst_sel:DWORD dst_unused:UNUSED_PAD src0_sel:WORD_1 src1_sel:DWORD
	v_fma_f16 v3, v119, v8, v3
	v_mul_f16_sdwa v8, v119, v8 dst_sel:DWORD dst_unused:UNUSED_PAD src0_sel:WORD_1 src1_sel:DWORD
	v_fma_f16 v8, v119, v12, -v8
	v_pack_b32_f16 v3, v3, v8
	s_waitcnt vmcnt(12)
	v_lshrrev_b32_e32 v8, 16, v4
	v_mul_f16_sdwa v12, v116, v8 dst_sel:DWORD dst_unused:UNUSED_PAD src0_sel:WORD_1 src1_sel:DWORD
	v_fma_f16 v12, v116, v4, v12
	v_mul_f16_sdwa v4, v116, v4 dst_sel:DWORD dst_unused:UNUSED_PAD src0_sel:WORD_1 src1_sel:DWORD
	v_fma_f16 v4, v116, v8, -v4
	s_waitcnt vmcnt(11)
	v_lshrrev_b32_e32 v8, 16, v10
	v_pack_b32_f16 v4, v12, v4
	v_mul_f16_sdwa v12, v113, v8 dst_sel:DWORD dst_unused:UNUSED_PAD src0_sel:WORD_1 src1_sel:DWORD
	v_fma_f16 v12, v113, v10, v12
	v_mul_f16_sdwa v10, v113, v10 dst_sel:DWORD dst_unused:UNUSED_PAD src0_sel:WORD_1 src1_sel:DWORD
	v_fma_f16 v8, v113, v8, -v10
	s_waitcnt vmcnt(10)
	v_lshrrev_b32_e32 v10, 16, v14
	v_pack_b32_f16 v8, v12, v8
	v_mul_f16_sdwa v12, v108, v10 dst_sel:DWORD dst_unused:UNUSED_PAD src0_sel:WORD_1 src1_sel:DWORD
	v_fma_f16 v12, v108, v14, v12
	v_mul_f16_sdwa v14, v108, v14 dst_sel:DWORD dst_unused:UNUSED_PAD src0_sel:WORD_1 src1_sel:DWORD
	v_fma_f16 v10, v108, v10, -v14
	v_pack_b32_f16 v10, v12, v10
	s_waitcnt vmcnt(8)
	v_lshrrev_b32_e32 v12, 16, v13
	v_mul_f16_sdwa v14, v111, v12 dst_sel:DWORD dst_unused:UNUSED_PAD src0_sel:WORD_1 src1_sel:DWORD
	v_fma_f16 v14, v111, v13, v14
	v_mul_f16_sdwa v13, v111, v13 dst_sel:DWORD dst_unused:UNUSED_PAD src0_sel:WORD_1 src1_sel:DWORD
	v_fma_f16 v12, v111, v12, -v13
	s_waitcnt vmcnt(7)
	v_lshrrev_b32_e32 v13, 16, v15
	v_pack_b32_f16 v12, v14, v12
	v_mul_f16_sdwa v14, v109, v13 dst_sel:DWORD dst_unused:UNUSED_PAD src0_sel:WORD_1 src1_sel:DWORD
	v_fma_f16 v14, v109, v15, v14
	v_mul_f16_sdwa v15, v109, v15 dst_sel:DWORD dst_unused:UNUSED_PAD src0_sel:WORD_1 src1_sel:DWORD
	v_fma_f16 v13, v109, v13, -v15
	v_pack_b32_f16 v13, v14, v13
	ds_write2st64_b32 v1, v5, v13 offset0:16 offset1:24
	s_waitcnt vmcnt(6)
	v_lshrrev_b32_e32 v5, 16, v9
	v_mul_f16_sdwa v13, v110, v5 dst_sel:DWORD dst_unused:UNUSED_PAD src0_sel:WORD_1 src1_sel:DWORD
	v_fma_f16 v13, v110, v9, v13
	v_mul_f16_sdwa v9, v110, v9 dst_sel:DWORD dst_unused:UNUSED_PAD src0_sel:WORD_1 src1_sel:DWORD
	v_fma_f16 v5, v110, v5, -v9
	v_pack_b32_f16 v5, v13, v5
	ds_write2st64_b32 v1, v7, v5 offset0:48 offset1:56
	s_waitcnt vmcnt(5)
	v_lshrrev_b32_e32 v5, 16, v16
	v_mul_f16_sdwa v7, v114, v5 dst_sel:DWORD dst_unused:UNUSED_PAD src0_sel:WORD_1 src1_sel:DWORD
	v_mul_f16_sdwa v9, v114, v16 dst_sel:DWORD dst_unused:UNUSED_PAD src0_sel:WORD_1 src1_sel:DWORD
	v_fma_f16 v7, v114, v16, v7
	v_fma_f16 v5, v114, v5, -v9
	v_pack_b32_f16 v5, v7, v5
	ds_write2st64_b32 v1, v6, v5 offset0:80 offset1:88
	s_waitcnt vmcnt(4)
	v_lshrrev_b32_e32 v5, 16, v11
	v_mul_f16_sdwa v6, v117, v5 dst_sel:DWORD dst_unused:UNUSED_PAD src0_sel:WORD_1 src1_sel:DWORD
	v_mul_f16_sdwa v7, v117, v11 dst_sel:DWORD dst_unused:UNUSED_PAD src0_sel:WORD_1 src1_sel:DWORD
	v_fma_f16 v6, v117, v11, v6
	;; [unrolled: 8-line block ×5, first 2 shown]
	v_fma_f16 v3, v122, v3, -v5
	v_pack_b32_f16 v3, v4, v3
	ds_write2st64_b32 v1, v10, v3 offset0:208 offset1:216
	s_waitcnt vmcnt(0)
	v_lshrrev_b32_e32 v3, 16, v2
	v_mul_f16_sdwa v4, v123, v3 dst_sel:DWORD dst_unused:UNUSED_PAD src0_sel:WORD_1 src1_sel:DWORD
	v_fma_f16 v4, v123, v2, v4
	v_mul_f16_sdwa v2, v123, v2 dst_sel:DWORD dst_unused:UNUSED_PAD src0_sel:WORD_1 src1_sel:DWORD
	v_fma_f16 v2, v123, v3, -v2
	v_pack_b32_f16 v2, v4, v2
	ds_write2st64_b32 v1, v12, v2 offset0:240 offset1:248
	s_waitcnt lgkmcnt(0)
	s_barrier
	ds_read2st64_b32 v[16:17], v1 offset1:8
	ds_read2st64_b32 v[22:23], v1 offset0:32 offset1:40
	ds_read2st64_b32 v[24:25], v1 offset0:64 offset1:72
	;; [unrolled: 1-line block ×7, first 2 shown]
	s_waitcnt lgkmcnt(7)
	v_lshrrev_b32_e32 v20, 16, v16
	s_waitcnt lgkmcnt(3)
	v_sub_f16_e32 v47, v16, v28
	v_lshrrev_b32_e32 v37, 16, v24
	v_lshrrev_b32_e32 v38, 16, v26
	v_fma_f16 v48, v16, 2.0, -v47
	s_waitcnt lgkmcnt(1)
	v_sub_f16_sdwa v16, v37, v32 dst_sel:DWORD dst_unused:UNUSED_PAD src0_sel:DWORD src1_sel:WORD_1
	v_lshrrev_b32_e32 v36, 16, v22
	v_sub_f16_e32 v49, v24, v32
	v_fma_f16 v32, v37, 2.0, -v16
	v_sub_f16_e32 v37, v22, v30
	s_waitcnt lgkmcnt(0)
	v_sub_f16_e32 v50, v26, v34
	v_sub_f16_sdwa v34, v38, v34 dst_sel:DWORD dst_unused:UNUSED_PAD src0_sel:DWORD src1_sel:WORD_1
	v_sub_f16_sdwa v28, v20, v28 dst_sel:DWORD dst_unused:UNUSED_PAD src0_sel:DWORD src1_sel:WORD_1
	;; [unrolled: 1-line block ×3, first 2 shown]
	v_sub_f16_e32 v51, v47, v16
	v_sub_f16_e32 v16, v37, v34
	v_fma_f16 v38, v38, 2.0, -v34
	v_add_f16_e32 v52, v28, v49
	v_fma_f16 v47, v47, 2.0, -v51
	v_add_f16_e32 v34, v30, v50
	v_fma_f16 v54, v37, 2.0, -v16
	v_fma_f16 v20, v20, 2.0, -v28
	;; [unrolled: 1-line block ×5, first 2 shown]
	v_fma_f16 v55, v54, s8, v47
	v_fma_f16 v55, v30, s8, v55
	;; [unrolled: 1-line block ×3, first 2 shown]
	v_fma_f16 v24, v24, 2.0, -v49
	v_fma_f16 v22, v22, 2.0, -v37
	;; [unrolled: 1-line block ×3, first 2 shown]
	v_sub_f16_e32 v32, v20, v32
	v_sub_f16_e32 v38, v36, v38
	v_fma_f16 v30, v54, s9, v30
	v_fma_f16 v54, v16, s9, v51
	v_sub_f16_e32 v24, v48, v24
	v_fma_f16 v20, v20, 2.0, -v32
	v_sub_f16_e32 v26, v22, v26
	v_fma_f16 v36, v36, 2.0, -v38
	v_lshrrev_b32_e32 v39, 16, v17
	v_lshrrev_b32_e32 v40, 16, v23
	;; [unrolled: 1-line block ×3, first 2 shown]
	ds_read2st64_b32 v[8:9], v1 offset0:16 offset1:24
	ds_read2st64_b32 v[4:5], v1 offset0:48 offset1:56
	;; [unrolled: 1-line block ×4, first 2 shown]
	v_lshrrev_b32_e32 v42, 16, v27
	v_fma_f16 v54, v34, s8, v54
	v_fma_f16 v34, v34, s9, v52
	v_sub_f16_e32 v56, v17, v29
	v_fma_f16 v37, v48, 2.0, -v24
	v_fma_f16 v22, v22, 2.0, -v26
	v_sub_f16_e32 v36, v20, v36
	ds_read2st64_b32 v[14:15], v1 offset0:144 offset1:152
	ds_read2st64_b32 v[10:11], v1 offset0:176 offset1:184
	ds_read2st64_b32 v[12:13], v1 offset0:208 offset1:216
	v_fma_f16 v34, v16, s9, v34
	v_sub_f16_sdwa v29, v39, v29 dst_sel:DWORD dst_unused:UNUSED_PAD src0_sel:DWORD src1_sel:WORD_1
	v_fma_f16 v58, v17, 2.0, -v56
	v_sub_f16_e32 v59, v25, v33
	v_sub_f16_sdwa v33, v41, v33 dst_sel:DWORD dst_unused:UNUSED_PAD src0_sel:DWORD src1_sel:WORD_1
	ds_read2st64_b32 v[16:17], v1 offset0:240 offset1:248
	v_sub_f16_e32 v49, v23, v31
	v_sub_f16_sdwa v31, v40, v31 dst_sel:DWORD dst_unused:UNUSED_PAD src0_sel:DWORD src1_sel:WORD_1
	v_sub_f16_e32 v48, v37, v22
	v_fma_f16 v50, v20, 2.0, -v36
	v_sub_f16_e32 v38, v24, v38
	v_add_f16_e32 v95, v32, v26
	v_sub_f16_e32 v20, v27, v35
	v_sub_f16_sdwa v22, v42, v35 dst_sel:DWORD dst_unused:UNUSED_PAD src0_sel:DWORD src1_sel:WORD_1
	v_fma_f16 v25, v25, 2.0, -v59
	v_fma_f16 v94, v28, 2.0, -v30
	;; [unrolled: 1-line block ×8, first 2 shown]
	v_sub_f16_e32 v33, v56, v33
	v_add_f16_e32 v59, v29, v59
	v_sub_f16_e32 v24, v49, v22
	v_add_f16_e32 v23, v31, v20
	v_fma_f16 v35, v27, 2.0, -v20
	v_fma_f16 v42, v42, 2.0, -v22
	;; [unrolled: 1-line block ×6, first 2 shown]
	s_waitcnt lgkmcnt(7)
	v_lshrrev_b32_e32 v43, 16, v8
	v_fma_f16 v39, v39, 2.0, -v29
	v_fma_f16 v27, v22, s8, v56
	v_fma_f16 v29, v20, s8, v124
	s_waitcnt lgkmcnt(5)
	v_lshrrev_b32_e32 v45, 16, v6
	s_waitcnt lgkmcnt(4)
	v_lshrrev_b32_e32 v46, 16, v2
	v_fma_f16 v37, v37, 2.0, -v48
	v_fma_f16 v47, v47, 2.0, -v55
	;; [unrolled: 1-line block ×3, first 2 shown]
	v_fma_f16 v20, v20, s8, v27
	v_fma_f16 v22, v22, s9, v29
	;; [unrolled: 1-line block ×4, first 2 shown]
	s_waitcnt lgkmcnt(3)
	v_sub_f16_e32 v31, v8, v14
	v_sub_f16_sdwa v14, v43, v14 dst_sel:DWORD dst_unused:UNUSED_PAD src0_sel:DWORD src1_sel:WORD_1
	v_lshrrev_b32_e32 v44, 16, v4
	v_fma_f16 v23, v23, s8, v27
	v_fma_f16 v24, v24, s9, v29
	v_pack_b32_f16 v29, v32, v51
	v_pack_b32_f16 v28, v26, v28
	v_fma_f16 v32, v43, 2.0, -v14
	v_pack_b32_f16 v27, v47, v94
	s_waitcnt lgkmcnt(1)
	v_sub_f16_e32 v43, v6, v12
	v_sub_f16_sdwa v12, v45, v12 dst_sel:DWORD dst_unused:UNUSED_PAD src0_sel:DWORD src1_sel:WORD_1
	v_pack_b32_f16 v26, v37, v50
	v_sub_f16_e32 v37, v4, v10
	s_waitcnt lgkmcnt(0)
	v_sub_f16_e32 v47, v2, v16
	v_sub_f16_sdwa v16, v46, v16 dst_sel:DWORD dst_unused:UNUSED_PAD src0_sel:DWORD src1_sel:WORD_1
	v_fma_f16 v45, v45, 2.0, -v12
	s_barrier
	ds_write_b128 v125, v[26:29]
	v_sub_f16_sdwa v10, v44, v10 dst_sel:DWORD dst_unused:UNUSED_PAD src0_sel:DWORD src1_sel:WORD_1
	v_pack_b32_f16 v29, v54, v34
	v_fma_f16 v34, v46, 2.0, -v16
	v_sub_f16_e32 v12, v31, v12
	v_sub_f16_e32 v16, v37, v16
	v_pack_b32_f16 v28, v38, v95
	v_add_f16_e32 v38, v14, v43
	v_pack_b32_f16 v27, v55, v30
	v_fma_f16 v30, v31, 2.0, -v12
	v_add_f16_e32 v46, v10, v47
	v_pack_b32_f16 v26, v48, v36
	v_fma_f16 v36, v37, 2.0, -v16
	v_fma_f16 v44, v44, 2.0, -v10
	;; [unrolled: 1-line block ×4, first 2 shown]
	v_fma_f16 v48, v36, s8, v30
	v_fma_f16 v48, v10, s8, v48
	;; [unrolled: 1-line block ×5, first 2 shown]
	v_fma_f16 v8, v8, 2.0, -v31
	v_fma_f16 v6, v6, 2.0, -v43
	;; [unrolled: 1-line block ×4, first 2 shown]
	v_lshrrev_b32_e32 v60, 16, v9
	v_fma_f16 v36, v46, s8, v36
	v_fma_f16 v46, v46, s9, v38
	v_lshrrev_b32_e32 v49, 16, v7
	v_lshrrev_b32_e32 v50, 16, v5
	;; [unrolled: 1-line block ×3, first 2 shown]
	v_sub_f16_e32 v6, v8, v6
	v_sub_f16_e32 v2, v4, v2
	v_fma_f16 v16, v16, s9, v46
	v_sub_f16_e32 v46, v9, v15
	v_sub_f16_sdwa v15, v60, v15 dst_sel:DWORD dst_unused:UNUSED_PAD src0_sel:DWORD src1_sel:WORD_1
	v_sub_f16_e32 v31, v7, v13
	v_sub_f16_sdwa v13, v49, v13 dst_sel:DWORD dst_unused:UNUSED_PAD src0_sel:DWORD src1_sel:WORD_1
	v_sub_f16_e32 v43, v5, v11
	v_sub_f16_sdwa v11, v50, v11 dst_sel:DWORD dst_unused:UNUSED_PAD src0_sel:DWORD src1_sel:WORD_1
	v_sub_f16_e32 v37, v3, v17
	v_sub_f16_sdwa v17, v51, v17 dst_sel:DWORD dst_unused:UNUSED_PAD src0_sel:DWORD src1_sel:WORD_1
	v_sub_f16_e32 v45, v32, v45
	v_fma_f16 v8, v8, 2.0, -v6
	v_fma_f16 v4, v4, 2.0, -v2
	v_sub_f16_e32 v47, v8, v4
	v_add_f16_e32 v94, v45, v2
	v_fma_f16 v2, v60, 2.0, -v15
	v_fma_f16 v4, v49, 2.0, -v13
	;; [unrolled: 1-line block ×4, first 2 shown]
	v_sub_f16_e32 v4, v2, v4
	v_sub_f16_e32 v50, v49, v50
	v_fma_f16 v2, v2, 2.0, -v4
	v_sub_f16_e32 v13, v46, v13
	v_fma_f16 v49, v49, 2.0, -v50
	;; [unrolled: 2-line block ×3, first 2 shown]
	v_fma_f16 v7, v7, 2.0, -v31
	v_fma_f16 v5, v5, 2.0, -v43
	;; [unrolled: 1-line block ×3, first 2 shown]
	v_add_f16_e32 v31, v15, v31
	v_fma_f16 v46, v46, 2.0, -v13
	v_add_f16_e32 v37, v11, v37
	v_fma_f16 v43, v43, 2.0, -v17
	v_sub_f16_e32 v49, v2, v49
	v_sub_f16_e32 v25, v58, v25
	;; [unrolled: 1-line block ×5, first 2 shown]
	v_fma_f16 v15, v15, 2.0, -v31
	v_fma_f16 v11, v11, 2.0, -v37
	;; [unrolled: 1-line block ×3, first 2 shown]
	v_fma_f16 v2, v43, s8, v46
	v_fma_f16 v55, v58, 2.0, -v25
	v_fma_f16 v39, v39, 2.0, -v41
	;; [unrolled: 1-line block ×4, first 2 shown]
	v_fma_f16 v95, v11, s8, v2
	v_fma_f16 v2, v11, s8, v15
	v_sub_f16_e32 v52, v55, v52
	v_sub_f16_e32 v40, v39, v40
	;; [unrolled: 1-line block ×3, first 2 shown]
	v_add_f16_e32 v35, v41, v35
	v_sub_f16_e32 v34, v44, v34
	v_sub_f16_e32 v7, v9, v7
	v_sub_f16_e32 v3, v5, v3
	v_fma_f16 v11, v43, s9, v2
	v_fma_f16 v2, v17, s9, v13
	v_fma_f16 v55, v55, 2.0, -v52
	v_fma_f16 v39, v39, 2.0, -v40
	;; [unrolled: 1-line block ×13, first 2 shown]
	v_sub_f16_e32 v46, v7, v50
	v_add_f16_e32 v50, v4, v3
	v_fma_f16 v127, v37, s8, v2
	v_fma_f16 v2, v37, s9, v31
	v_or_b32_e32 v54, 0x200, v0
	v_sub_f16_e32 v44, v32, v44
	v_sub_f16_e32 v34, v6, v34
	;; [unrolled: 1-line block ×3, first 2 shown]
	v_fma_f16 v124, v4, 2.0, -v50
	v_fma_f16 v17, v17, s9, v2
	v_pack_b32_f16 v5, v33, v59
	v_pack_b32_f16 v4, v25, v41
	v_pack_b32_f16 v3, v56, v58
	v_pack_b32_f16 v2, v55, v39
	v_fma_f16 v8, v8, 2.0, -v47
	v_fma_f16 v32, v32, 2.0, -v44
	;; [unrolled: 1-line block ×8, first 2 shown]
	v_lshlrev_b32_e32 v135, 5, v54
	ds_write_b128 v125, v[2:5] offset:16384
	v_pack_b32_f16 v5, v23, v24
	v_pack_b32_f16 v4, v42, v35
	;; [unrolled: 1-line block ×4, first 2 shown]
	ds_write_b128 v135, v[2:5] offset:16
	v_pack_b32_f16 v5, v12, v38
	v_pack_b32_f16 v4, v6, v45
	;; [unrolled: 1-line block ×4, first 2 shown]
	v_fma_f16 v9, v9, 2.0, -v51
	v_fma_f16 v15, v15, 2.0, -v11
	;; [unrolled: 1-line block ×5, first 2 shown]
	ds_write_b128 v125, v[2:5] offset:32768
	v_pack_b32_f16 v5, v36, v16
	v_pack_b32_f16 v4, v34, v94
	;; [unrolled: 1-line block ×4, first 2 shown]
	ds_write_b128 v129, v[2:5] offset:16
	v_pack_b32_f16 v5, v13, v31
	v_pack_b32_f16 v4, v7, v124
	;; [unrolled: 1-line block ×4, first 2 shown]
	ds_write_b128 v125, v[2:5] offset:49152
	v_pack_b32_f16 v4, v46, v50
	v_and_b32_e32 v50, 7, v0
	v_pack_b32_f16 v5, v127, v17
	v_pack_b32_f16 v3, v95, v11
	;; [unrolled: 1-line block ×3, first 2 shown]
	v_mad_u64_u32 v[14:15], s[12:13], v50, 60, s[10:11]
	ds_write_b128 v125, v[26:29] offset:16
	ds_write_b128 v126, v[2:5] offset:16
	s_waitcnt lgkmcnt(0)
	s_barrier
	global_load_dwordx4 v[10:13], v[14:15], off
	global_load_dwordx4 v[6:9], v[14:15], off offset:16
	global_load_dwordx4 v[2:5], v[14:15], off offset:32
	global_load_dwordx3 v[18:20], v[14:15], off offset:48
	ds_read2st64_b32 v[14:15], v1 offset1:8
	ds_read2st64_b32 v[34:35], v1 offset0:16 offset1:24
	ds_read2st64_b32 v[32:33], v1 offset0:32 offset1:40
	ds_read2st64_b32 v[30:31], v1 offset0:64 offset1:72
	ds_read2st64_b32 v[28:29], v1 offset0:96 offset1:104
	ds_read2st64_b32 v[26:27], v1 offset0:128 offset1:136
	ds_read2st64_b32 v[24:25], v1 offset0:160 offset1:168
	ds_read2st64_b32 v[22:23], v1 offset0:192 offset1:200
	ds_read2st64_b32 v[16:17], v1 offset0:224 offset1:232
	s_waitcnt lgkmcnt(4)
	v_lshrrev_b32_e32 v40, 16, v28
	s_waitcnt lgkmcnt(3)
	v_lshrrev_b32_e32 v41, 16, v26
	v_lshrrev_b32_e32 v37, 16, v32
	;; [unrolled: 1-line block ×3, first 2 shown]
	s_waitcnt lgkmcnt(2)
	v_lshrrev_b32_e32 v42, 16, v24
	s_waitcnt lgkmcnt(1)
	v_lshrrev_b32_e32 v43, 16, v22
	;; [unrolled: 2-line block ×3, first 2 shown]
	v_lshrrev_b32_e32 v36, 16, v14
	v_lshrrev_b32_e32 v38, 16, v34
	s_mov_b32 s13, 0xbb64
	s_mov_b32 s12, 0xb61f
	s_waitcnt vmcnt(3)
	v_mul_f16_sdwa v45, v37, v11 dst_sel:DWORD dst_unused:UNUSED_PAD src0_sel:DWORD src1_sel:WORD_1
	v_fma_f16 v45, v32, v11, -v45
	v_mul_f16_sdwa v32, v32, v11 dst_sel:DWORD dst_unused:UNUSED_PAD src0_sel:DWORD src1_sel:WORD_1
	v_fma_f16 v32, v37, v11, v32
	v_mul_f16_sdwa v37, v39, v13 dst_sel:DWORD dst_unused:UNUSED_PAD src0_sel:DWORD src1_sel:WORD_1
	v_fma_f16 v37, v30, v13, -v37
	v_mul_f16_sdwa v30, v30, v13 dst_sel:DWORD dst_unused:UNUSED_PAD src0_sel:DWORD src1_sel:WORD_1
	v_fma_f16 v30, v39, v13, v30
	s_waitcnt vmcnt(2)
	v_mul_f16_sdwa v39, v40, v7 dst_sel:DWORD dst_unused:UNUSED_PAD src0_sel:DWORD src1_sel:WORD_1
	v_fma_f16 v39, v28, v7, -v39
	v_mul_f16_sdwa v28, v28, v7 dst_sel:DWORD dst_unused:UNUSED_PAD src0_sel:DWORD src1_sel:WORD_1
	v_fma_f16 v28, v40, v7, v28
	v_mul_f16_sdwa v40, v41, v9 dst_sel:DWORD dst_unused:UNUSED_PAD src0_sel:DWORD src1_sel:WORD_1
	v_fma_f16 v40, v26, v9, -v40
	v_mul_f16_sdwa v26, v26, v9 dst_sel:DWORD dst_unused:UNUSED_PAD src0_sel:DWORD src1_sel:WORD_1
	v_fma_f16 v26, v41, v9, v26
	;; [unrolled: 9-line block ×3, first 2 shown]
	s_waitcnt vmcnt(0)
	v_mul_f16_sdwa v43, v44, v19 dst_sel:DWORD dst_unused:UNUSED_PAD src0_sel:DWORD src1_sel:WORD_1
	v_fma_f16 v43, v16, v19, -v43
	v_mul_f16_sdwa v16, v16, v19 dst_sel:DWORD dst_unused:UNUSED_PAD src0_sel:DWORD src1_sel:WORD_1
	v_sub_f16_e32 v26, v36, v26
	v_fma_f16 v16, v44, v19, v16
	v_fma_f16 v52, v36, 2.0, -v26
	v_sub_f16_e32 v36, v37, v42
	v_sub_f16_e32 v51, v14, v40
	;; [unrolled: 1-line block ×3, first 2 shown]
	v_fma_f16 v55, v37, 2.0, -v36
	v_sub_f16_e32 v37, v45, v41
	v_sub_f16_e32 v16, v28, v16
	v_fma_f16 v30, v30, 2.0, -v22
	v_sub_f16_e32 v24, v32, v24
	v_sub_f16_e32 v40, v39, v43
	;; [unrolled: 3-line block ×3, first 2 shown]
	v_add_f16_e32 v59, v26, v36
	v_fma_f16 v60, v51, 2.0, -v22
	v_add_f16_e32 v94, v24, v40
	v_fma_f16 v36, v37, 2.0, -v16
	v_fma_f16 v56, v45, 2.0, -v37
	v_fma_f16 v32, v32, 2.0, -v24
	v_fma_f16 v26, v26, 2.0, -v59
	v_fma_f16 v24, v24, 2.0, -v94
	v_fma_f16 v37, v36, s8, v60
	v_fma_f16 v95, v24, s8, v37
	;; [unrolled: 1-line block ×4, first 2 shown]
	ds_read2st64_b32 v[36:37], v1 offset0:48 offset1:56
	v_fma_f16 v58, v39, 2.0, -v40
	v_mul_f16_sdwa v39, v34, v10 dst_sel:DWORD dst_unused:UNUSED_PAD src0_sel:DWORD src1_sel:WORD_1
	v_fma_f16 v124, v38, v10, v39
	v_mul_f16_sdwa v38, v38, v10 dst_sel:DWORD dst_unused:UNUSED_PAD src0_sel:DWORD src1_sel:WORD_1
	v_fma_f16 v34, v34, v10, -v38
	s_waitcnt lgkmcnt(0)
	v_lshrrev_b32_e32 v40, 16, v36
	ds_read2st64_b32 v[38:39], v1 offset0:80 offset1:88
	v_mul_f16_sdwa v41, v36, v12 dst_sel:DWORD dst_unused:UNUSED_PAD src0_sel:DWORD src1_sel:WORD_1
	v_fma_f16 v127, v40, v12, v41
	v_mul_f16_sdwa v40, v40, v12 dst_sel:DWORD dst_unused:UNUSED_PAD src0_sel:DWORD src1_sel:WORD_1
	v_fma_f16 v36, v36, v12, -v40
	ds_read2st64_b32 v[40:41], v1 offset0:112 offset1:120
	s_waitcnt lgkmcnt(1)
	v_lshrrev_b32_e32 v42, 16, v38
	v_mul_f16_sdwa v43, v38, v6 dst_sel:DWORD dst_unused:UNUSED_PAD src0_sel:DWORD src1_sel:WORD_1
	v_fma_f16 v128, v42, v6, v43
	v_mul_f16_sdwa v42, v42, v6 dst_sel:DWORD dst_unused:UNUSED_PAD src0_sel:DWORD src1_sel:WORD_1
	v_fma_f16 v38, v38, v6, -v42
	s_waitcnt lgkmcnt(0)
	v_lshrrev_b32_e32 v44, 16, v40
	ds_read2st64_b32 v[42:43], v1 offset0:144 offset1:152
	v_mul_f16_sdwa v45, v40, v8 dst_sel:DWORD dst_unused:UNUSED_PAD src0_sel:DWORD src1_sel:WORD_1
	v_fma_f16 v130, v44, v8, v45
	v_mul_f16_sdwa v44, v44, v8 dst_sel:DWORD dst_unused:UNUSED_PAD src0_sel:DWORD src1_sel:WORD_1
	v_fma_f16 v40, v40, v8, -v44
	ds_read2st64_b32 v[44:45], v1 offset0:176 offset1:184
	s_waitcnt lgkmcnt(1)
	v_lshrrev_b32_e32 v46, 16, v42
	;; [unrolled: 14-line block ×3, first 2 shown]
	v_mul_f16_sdwa v134, v46, v18 dst_sel:DWORD dst_unused:UNUSED_PAD src0_sel:DWORD src1_sel:WORD_1
	v_fma_f16 v134, v133, v18, v134
	v_mul_f16_sdwa v133, v133, v18 dst_sel:DWORD dst_unused:UNUSED_PAD src0_sel:DWORD src1_sel:WORD_1
	v_fma_f16 v46, v46, v18, -v133
	s_waitcnt lgkmcnt(0)
	v_lshrrev_b32_e32 v133, 16, v48
	v_mul_f16_sdwa v136, v48, v20 dst_sel:DWORD dst_unused:UNUSED_PAD src0_sel:DWORD src1_sel:WORD_1
	v_fma_f16 v136, v133, v20, v136
	v_mul_f16_sdwa v133, v133, v20 dst_sel:DWORD dst_unused:UNUSED_PAD src0_sel:DWORD src1_sel:WORD_1
	v_fma_f16 v48, v48, v20, -v133
	v_sub_f16_e32 v42, v34, v42
	v_sub_f16_e32 v133, v128, v134
	;; [unrolled: 1-line block ×6, first 2 shown]
	v_fma_f16 v128, v128, 2.0, -v133
	v_sub_f16_e32 v132, v127, v132
	v_sub_f16_e32 v48, v40, v48
	v_fma_f16 v130, v130, 2.0, -v134
	v_sub_f16_e32 v133, v42, v133
	v_sub_f16_e32 v134, v44, v134
	v_fma_f16 v34, v34, 2.0, -v42
	v_fma_f16 v124, v124, 2.0, -v131
	;; [unrolled: 1-line block ×6, first 2 shown]
	v_add_f16_e32 v46, v131, v46
	v_fma_f16 v42, v42, 2.0, -v133
	v_add_f16_e32 v48, v132, v48
	v_fma_f16 v44, v44, 2.0, -v134
	v_fma_f16 v14, v14, 2.0, -v51
	;; [unrolled: 1-line block ×4, first 2 shown]
	v_fma_f16 v136, v44, s8, v42
	v_sub_f16_e32 v51, v14, v55
	v_sub_f16_e32 v30, v52, v30
	;; [unrolled: 1-line block ×8, first 2 shown]
	v_fma_f16 v136, v132, s8, v136
	v_fma_f16 v132, v132, s8, v131
	v_fma_f16 v14, v14, 2.0, -v51
	v_fma_f16 v52, v52, 2.0, -v30
	;; [unrolled: 1-line block ×8, first 2 shown]
	v_fma_f16 v44, v44, s9, v132
	v_fma_f16 v60, v60, 2.0, -v95
	v_fma_f16 v42, v42, 2.0, -v136
	v_sub_f16_e32 v56, v14, v56
	v_sub_f16_e32 v32, v52, v32
	;; [unrolled: 1-line block ×4, first 2 shown]
	v_fma_f16 v26, v26, 2.0, -v24
	v_fma_f16 v131, v131, 2.0, -v44
	v_fma_f16 v132, v42, s13, v60
	v_fma_f16 v14, v14, 2.0, -v56
	v_fma_f16 v52, v52, 2.0, -v32
	;; [unrolled: 1-line block ×4, first 2 shown]
	v_fma_f16 v132, v131, s12, v132
	v_fma_f16 v131, v131, s13, v26
	v_sub_f16_e32 v34, v14, v34
	v_sub_f16_e32 v130, v52, v124
	v_fma_f16 v42, v42, s14, v131
	v_fma_f16 v14, v14, 2.0, -v34
	v_fma_f16 v52, v52, 2.0, -v130
	v_pack_b32_f16 v14, v14, v52
	v_fma_f16 v52, v60, 2.0, -v132
	v_fma_f16 v26, v26, 2.0, -v42
	v_pack_b32_f16 v26, v52, v26
	v_lshlrev_b32_e32 v52, 4, v0
	v_and_or_b32 v60, v52, s15, v50
	v_lshlrev_b32_e32 v124, 2, v60
	v_sub_f16_e32 v28, v51, v28
	v_sub_f16_e32 v60, v38, v128
	s_barrier
	ds_write2_b32 v124, v14, v26 offset1:8
	v_fma_f16 v14, v16, s9, v22
	v_fma_f16 v26, v94, s9, v59
	v_add_f16_e32 v55, v30, v55
	v_fma_f16 v51, v51, 2.0, -v28
	v_add_f16_e32 v40, v58, v40
	v_fma_f16 v38, v38, 2.0, -v60
	v_fma_f16 v14, v94, s8, v14
	v_fma_f16 v16, v16, s9, v26
	v_fma_f16 v26, v134, s9, v133
	v_fma_f16 v30, v30, 2.0, -v55
	v_fma_f16 v58, v58, 2.0, -v40
	v_fma_f16 v94, v38, s8, v51
	v_fma_f16 v26, v48, s8, v26
	v_fma_f16 v48, v48, s9, v46
	v_fma_f16 v94, v58, s8, v94
	v_fma_f16 v58, v58, s8, v30
	v_fma_f16 v48, v134, s9, v48
	v_fma_f16 v38, v38, s9, v58
	v_fma_f16 v22, v22, 2.0, -v14
	v_fma_f16 v58, v59, 2.0, -v16
	;; [unrolled: 1-line block ×4, first 2 shown]
	v_fma_f16 v128, v59, s12, v22
	v_fma_f16 v128, v46, s13, v128
	;; [unrolled: 1-line block ×3, first 2 shown]
	s_movk_i32 s15, 0x3b64
	v_fma_f16 v46, v59, s15, v46
	v_fma_f16 v51, v51, 2.0, -v94
	v_fma_f16 v30, v30, 2.0, -v38
	v_pack_b32_f16 v30, v51, v30
	v_fma_f16 v22, v22, 2.0, -v128
	v_fma_f16 v51, v58, 2.0, -v46
	v_pack_b32_f16 v22, v22, v51
	ds_write2_b32 v124, v30, v22 offset0:16 offset1:24
	v_fma_f16 v22, v136, s14, v95
	v_fma_f16 v22, v44, s13, v22
	;; [unrolled: 1-line block ×3, first 2 shown]
	v_sub_f16_e32 v44, v56, v127
	v_add_f16_e32 v36, v32, v36
	v_fma_f16 v30, v136, s15, v30
	v_fma_f16 v51, v56, 2.0, -v44
	v_fma_f16 v32, v32, 2.0, -v36
	v_pack_b32_f16 v32, v51, v32
	v_fma_f16 v51, v95, 2.0, -v22
	v_fma_f16 v24, v24, 2.0, -v30
	v_pack_b32_f16 v24, v51, v24
	ds_write2_b32 v124, v32, v24 offset0:32 offset1:40
	v_fma_f16 v24, v60, s9, v28
	v_fma_f16 v32, v40, s8, v24
	v_fma_f16 v24, v40, s9, v55
	v_fma_f16 v40, v60, s9, v24
	v_fma_f16 v24, v26, s15, v14
	v_fma_f16 v51, v48, s12, v24
	v_fma_f16 v24, v48, s15, v16
	v_fma_f16 v48, v26, s14, v24
	v_fma_f16 v24, v28, 2.0, -v32
	v_fma_f16 v26, v55, 2.0, -v40
	;; [unrolled: 1-line block ×4, first 2 shown]
	v_pack_b32_f16 v24, v24, v26
	v_pack_b32_f16 v14, v14, v16
	ds_write2_b32 v124, v24, v14 offset0:48 offset1:56
	v_pack_b32_f16 v14, v34, v130
	v_pack_b32_f16 v16, v132, v42
	ds_write2_b32 v124, v14, v16 offset0:64 offset1:72
	;; [unrolled: 3-line block ×4, first 2 shown]
	v_lshrrev_b32_e32 v14, 16, v35
	v_mul_f16_sdwa v22, v35, v10 dst_sel:DWORD dst_unused:UNUSED_PAD src0_sel:DWORD src1_sel:WORD_1
	v_mul_f16_sdwa v16, v14, v10 dst_sel:DWORD dst_unused:UNUSED_PAD src0_sel:DWORD src1_sel:WORD_1
	v_fma_f16 v14, v14, v10, v22
	v_lshrrev_b32_e32 v22, 16, v33
	v_mul_f16_sdwa v26, v33, v11 dst_sel:DWORD dst_unused:UNUSED_PAD src0_sel:DWORD src1_sel:WORD_1
	v_mul_f16_sdwa v24, v22, v11 dst_sel:DWORD dst_unused:UNUSED_PAD src0_sel:DWORD src1_sel:WORD_1
	v_fma_f16 v22, v22, v11, v26
	;; [unrolled: 4-line block ×3, first 2 shown]
	v_lshrrev_b32_e32 v30, 16, v31
	v_fma_f16 v24, v33, v11, -v24
	v_mul_f16_sdwa v33, v30, v13 dst_sel:DWORD dst_unused:UNUSED_PAD src0_sel:DWORD src1_sel:WORD_1
	v_fma_f16 v33, v31, v13, -v33
	v_mul_f16_sdwa v31, v31, v13 dst_sel:DWORD dst_unused:UNUSED_PAD src0_sel:DWORD src1_sel:WORD_1
	v_fma_f16 v16, v35, v10, -v16
	v_fma_f16 v30, v30, v13, v31
	v_lshrrev_b32_e32 v31, 16, v39
	v_mul_f16_sdwa v35, v39, v6 dst_sel:DWORD dst_unused:UNUSED_PAD src0_sel:DWORD src1_sel:WORD_1
	v_mul_f16_sdwa v34, v31, v6 dst_sel:DWORD dst_unused:UNUSED_PAD src0_sel:DWORD src1_sel:WORD_1
	v_fma_f16 v31, v31, v6, v35
	v_lshrrev_b32_e32 v35, 16, v29
	v_mul_f16_sdwa v36, v35, v7 dst_sel:DWORD dst_unused:UNUSED_PAD src0_sel:DWORD src1_sel:WORD_1
	v_fma_f16 v36, v29, v7, -v36
	v_mul_f16_sdwa v29, v29, v7 dst_sel:DWORD dst_unused:UNUSED_PAD src0_sel:DWORD src1_sel:WORD_1
	v_fma_f16 v29, v35, v7, v29
	v_lshrrev_b32_e32 v35, 16, v41
	v_mul_f16_sdwa v38, v41, v8 dst_sel:DWORD dst_unused:UNUSED_PAD src0_sel:DWORD src1_sel:WORD_1
	v_fma_f16 v28, v37, v12, -v28
	v_mul_f16_sdwa v37, v35, v8 dst_sel:DWORD dst_unused:UNUSED_PAD src0_sel:DWORD src1_sel:WORD_1
	v_fma_f16 v35, v35, v8, v38
	v_lshrrev_b32_e32 v38, 16, v27
	v_fma_f16 v34, v39, v6, -v34
	v_mul_f16_sdwa v39, v38, v9 dst_sel:DWORD dst_unused:UNUSED_PAD src0_sel:DWORD src1_sel:WORD_1
	v_fma_f16 v39, v27, v9, -v39
	v_mul_f16_sdwa v27, v27, v9 dst_sel:DWORD dst_unused:UNUSED_PAD src0_sel:DWORD src1_sel:WORD_1
	v_fma_f16 v27, v38, v9, v27
	v_lshrrev_b32_e32 v38, 16, v43
	v_mul_f16_sdwa v42, v43, v2 dst_sel:DWORD dst_unused:UNUSED_PAD src0_sel:DWORD src1_sel:WORD_1
	v_fma_f16 v37, v41, v8, -v37
	v_mul_f16_sdwa v41, v38, v2 dst_sel:DWORD dst_unused:UNUSED_PAD src0_sel:DWORD src1_sel:WORD_1
	v_fma_f16 v38, v38, v2, v42
	v_lshrrev_b32_e32 v42, 16, v25
	v_fma_f16 v41, v43, v2, -v41
	v_mul_f16_sdwa v43, v42, v3 dst_sel:DWORD dst_unused:UNUSED_PAD src0_sel:DWORD src1_sel:WORD_1
	v_fma_f16 v43, v25, v3, -v43
	v_mul_f16_sdwa v25, v25, v3 dst_sel:DWORD dst_unused:UNUSED_PAD src0_sel:DWORD src1_sel:WORD_1
	v_fma_f16 v25, v42, v3, v25
	v_lshrrev_b32_e32 v42, 16, v45
	v_mul_f16_sdwa v44, v42, v4 dst_sel:DWORD dst_unused:UNUSED_PAD src0_sel:DWORD src1_sel:WORD_1
	v_fma_f16 v44, v45, v4, -v44
	v_mul_f16_sdwa v45, v45, v4 dst_sel:DWORD dst_unused:UNUSED_PAD src0_sel:DWORD src1_sel:WORD_1
	v_fma_f16 v42, v42, v4, v45
	v_lshrrev_b32_e32 v45, 16, v23
	;; [unrolled: 5-line block ×5, first 2 shown]
	v_mul_f16_sdwa v58, v47, v20 dst_sel:DWORD dst_unused:UNUSED_PAD src0_sel:DWORD src1_sel:WORD_1
	v_fma_f16 v58, v49, v20, -v58
	v_mul_f16_sdwa v49, v49, v20 dst_sel:DWORD dst_unused:UNUSED_PAD src0_sel:DWORD src1_sel:WORD_1
	v_fma_f16 v47, v47, v20, v49
	v_sub_f16_e32 v39, v15, v39
	v_lshrrev_b32_e32 v49, 16, v15
	v_fma_f16 v59, v15, 2.0, -v39
	v_sub_f16_e32 v15, v49, v27
	v_sub_f16_e32 v23, v30, v23
	;; [unrolled: 1-line block ×4, first 2 shown]
	v_fma_f16 v27, v49, 2.0, -v15
	v_sub_f16_e32 v46, v33, v46
	v_fma_f16 v30, v30, 2.0, -v23
	v_sub_f16_e32 v25, v22, v25
	v_sub_f16_e32 v49, v36, v56
	v_fma_f16 v29, v29, 2.0, -v17
	v_sub_f16_e32 v23, v39, v23
	v_sub_f16_e32 v17, v43, v17
	v_fma_f16 v33, v33, 2.0, -v46
	v_fma_f16 v24, v24, 2.0, -v43
	;; [unrolled: 1-line block ×3, first 2 shown]
	v_add_f16_e32 v46, v15, v46
	v_fma_f16 v39, v39, 2.0, -v23
	v_add_f16_e32 v49, v25, v49
	v_fma_f16 v43, v43, 2.0, -v17
	v_fma_f16 v22, v22, 2.0, -v25
	;; [unrolled: 1-line block ×4, first 2 shown]
	v_fma_f16 v56, v43, s8, v39
	v_fma_f16 v56, v25, s8, v56
	;; [unrolled: 1-line block ×8, first 2 shown]
	v_sub_f16_e32 v25, v14, v38
	v_sub_f16_e32 v17, v16, v41
	v_fma_f16 v38, v14, 2.0, -v25
	v_sub_f16_e32 v14, v34, v55
	v_sub_f16_e32 v41, v31, v45
	v_fma_f16 v31, v31, 2.0, -v41
	v_sub_f16_e32 v44, v28, v44
	v_sub_f16_e32 v47, v35, v47
	;; [unrolled: 1-line block ×3, first 2 shown]
	v_add_f16_e32 v55, v25, v14
	v_fma_f16 v16, v16, 2.0, -v17
	v_fma_f16 v34, v34, 2.0, -v14
	v_sub_f16_e32 v42, v26, v42
	v_sub_f16_e32 v45, v37, v58
	v_fma_f16 v14, v17, 2.0, -v41
	v_fma_f16 v17, v25, 2.0, -v55
	v_sub_f16_e32 v25, v44, v47
	v_fma_f16 v28, v28, 2.0, -v44
	v_fma_f16 v37, v37, 2.0, -v45
	v_add_f16_e32 v45, v42, v45
	v_fma_f16 v44, v44, 2.0, -v25
	v_fma_f16 v26, v26, 2.0, -v42
	v_fma_f16 v35, v35, 2.0, -v47
	v_fma_f16 v42, v42, 2.0, -v45
	v_fma_f16 v47, v44, s8, v14
	v_fma_f16 v47, v42, s8, v47
	;; [unrolled: 1-line block ×5, first 2 shown]
	v_fma_f16 v39, v39, 2.0, -v56
	v_fma_f16 v58, v15, 2.0, -v43
	;; [unrolled: 1-line block ×3, first 2 shown]
	v_fma_f16 v44, v45, s8, v44
	v_fma_f16 v45, v45, s9, v55
	v_fma_f16 v17, v17, 2.0, -v42
	v_fma_f16 v14, v15, s13, v39
	v_fma_f16 v45, v25, s9, v45
	;; [unrolled: 1-line block ×4, first 2 shown]
	v_sub_f16_e32 v25, v27, v30
	v_fma_f16 v15, v15, s14, v17
	v_sub_f16_e32 v17, v59, v33
	v_fma_f16 v33, v27, 2.0, -v25
	v_sub_f16_e32 v27, v24, v36
	v_sub_f16_e32 v29, v22, v29
	v_fma_f16 v30, v59, 2.0, -v17
	v_fma_f16 v36, v24, 2.0, -v27
	;; [unrolled: 1-line block ×3, first 2 shown]
	v_sub_f16_e32 v22, v16, v34
	v_sub_f16_e32 v24, v38, v31
	;; [unrolled: 1-line block ×3, first 2 shown]
	v_fma_f16 v31, v16, 2.0, -v22
	v_fma_f16 v34, v38, 2.0, -v24
	v_sub_f16_e32 v16, v28, v37
	v_sub_f16_e32 v29, v17, v29
	v_add_f16_e32 v38, v25, v27
	v_sub_f16_e32 v27, v22, v35
	v_fma_f16 v37, v26, 2.0, -v35
	v_fma_f16 v94, v17, 2.0, -v29
	v_add_f16_e32 v35, v24, v16
	v_fma_f16 v17, v22, 2.0, -v27
	v_fma_f16 v28, v28, 2.0, -v16
	;; [unrolled: 1-line block ×4, first 2 shown]
	v_fma_f16 v16, v17, s8, v94
	v_fma_f16 v16, v22, s8, v16
	v_fma_f16 v22, v22, s8, v95
	v_fma_f16 v127, v23, 2.0, -v60
	v_fma_f16 v23, v41, 2.0, -v44
	v_fma_f16 v17, v17, s9, v22
	v_fma_f16 v46, v46, 2.0, -v49
	v_fma_f16 v24, v55, 2.0, -v45
	v_fma_f16 v22, v23, s12, v127
	v_fma_f16 v22, v24, s13, v22
	;; [unrolled: 1-line block ×7, first 2 shown]
	v_sub_f16_e32 v36, v30, v36
	v_sub_f16_e32 v42, v33, v59
	;; [unrolled: 1-line block ×4, first 2 shown]
	v_fma_f16 v26, v27, s9, v29
	v_pack_b32_f16 v32, v32, v40
	v_pack_b32_f16 v40, v51, v48
	v_fma_f16 v30, v30, 2.0, -v36
	v_fma_f16 v33, v33, 2.0, -v42
	;; [unrolled: 1-line block ×4, first 2 shown]
	v_fma_f16 v26, v35, s8, v26
	v_fma_f16 v35, v35, s9, v38
	;; [unrolled: 1-line block ×3, first 2 shown]
	v_sub_f16_e32 v31, v30, v31
	v_sub_f16_e32 v34, v33, v34
	ds_write2_b32 v124, v32, v40 offset0:112 offset1:120
	v_lshlrev_b32_e32 v32, 4, v54
	v_fma_f16 v27, v27, s9, v35
	v_fma_f16 v35, v44, s15, v60
	;; [unrolled: 1-line block ×3, first 2 shown]
	v_fma_f16 v30, v30, 2.0, -v31
	v_fma_f16 v33, v33, 2.0, -v34
	;; [unrolled: 1-line block ×4, first 2 shown]
	v_and_or_b32 v32, v32, s16, v50
	v_fma_f16 v25, v47, s15, v25
	v_fma_f16 v35, v45, s12, v35
	v_fma_f16 v45, v94, 2.0, -v16
	v_fma_f16 v47, v95, 2.0, -v17
	;; [unrolled: 1-line block ×4, first 2 shown]
	v_sub_f16_e32 v37, v36, v37
	v_add_f16_e32 v28, v42, v28
	v_lshlrev_b32_e32 v128, 2, v32
	v_pack_b32_f16 v30, v30, v33
	v_pack_b32_f16 v32, v39, v44
	v_fma_f16 v36, v36, 2.0, -v37
	v_fma_f16 v42, v42, 2.0, -v28
	;; [unrolled: 1-line block ×4, first 2 shown]
	ds_write2_b32 v128, v30, v32 offset1:8
	v_pack_b32_f16 v30, v45, v47
	v_pack_b32_f16 v32, v48, v46
	v_fma_f16 v29, v29, 2.0, -v26
	v_fma_f16 v38, v38, 2.0, -v27
	;; [unrolled: 1-line block ×4, first 2 shown]
	ds_write2_b32 v128, v30, v32 offset0:16 offset1:24
	v_pack_b32_f16 v30, v36, v42
	v_pack_b32_f16 v32, v51, v43
	ds_write2_b32 v128, v30, v32 offset0:32 offset1:40
	v_pack_b32_f16 v29, v29, v38
	v_pack_b32_f16 v30, v55, v49
	;; [unrolled: 3-line block ×6, first 2 shown]
	v_and_b32_e32 v55, 0x7f, v0
	ds_write2_b32 v128, v14, v15 offset0:112 offset1:120
	v_mad_u64_u32 v[14:15], s[16:17], v55, 12, s[10:11]
	s_waitcnt lgkmcnt(0)
	s_barrier
	global_load_dwordx3 v[22:24], v[14:15], off offset:480
	ds_read2st64_b32 v[36:37], v1 offset1:8
	ds_read2st64_b32 v[44:45], v1 offset0:64 offset1:72
	ds_read2st64_b32 v[42:43], v1 offset0:128 offset1:136
	;; [unrolled: 1-line block ×3, first 2 shown]
	s_movk_i32 s16, 0x600
	s_waitcnt lgkmcnt(3)
	v_lshrrev_b32_e32 v25, 16, v36
	s_waitcnt lgkmcnt(2)
	v_lshrrev_b32_e32 v38, 16, v44
	;; [unrolled: 2-line block ×4, first 2 shown]
	ds_read2st64_b32 v[28:29], v1 offset0:16 offset1:24
	ds_read2st64_b32 v[34:35], v1 offset0:80 offset1:88
	;; [unrolled: 1-line block ×7, first 2 shown]
	s_waitcnt vmcnt(0)
	v_mul_f16_sdwa v47, v38, v22 dst_sel:DWORD dst_unused:UNUSED_PAD src0_sel:DWORD src1_sel:WORD_1
	v_fma_f16 v47, v44, v22, -v47
	v_mul_f16_sdwa v44, v44, v22 dst_sel:DWORD dst_unused:UNUSED_PAD src0_sel:DWORD src1_sel:WORD_1
	v_fma_f16 v38, v38, v22, v44
	v_mul_f16_sdwa v44, v39, v23 dst_sel:DWORD dst_unused:UNUSED_PAD src0_sel:DWORD src1_sel:WORD_1
	v_fma_f16 v44, v42, v23, -v44
	v_mul_f16_sdwa v42, v42, v23 dst_sel:DWORD dst_unused:UNUSED_PAD src0_sel:DWORD src1_sel:WORD_1
	v_fma_f16 v39, v39, v23, v42
	;; [unrolled: 4-line block ×3, first 2 shown]
	v_sub_f16_e32 v44, v36, v44
	v_sub_f16_e32 v39, v25, v39
	;; [unrolled: 1-line block ×4, first 2 shown]
	v_fma_f16 v36, v36, 2.0, -v44
	v_fma_f16 v25, v25, 2.0, -v39
	;; [unrolled: 1-line block ×4, first 2 shown]
	v_sub_f16_e32 v56, v36, v46
	v_sub_f16_e32 v60, v25, v38
	;; [unrolled: 1-line block ×3, first 2 shown]
	v_add_f16_e32 v42, v39, v42
	v_fma_f16 v36, v36, 2.0, -v56
	v_fma_f16 v25, v25, 2.0, -v60
	;; [unrolled: 1-line block ×4, first 2 shown]
	v_and_or_b32 v44, v1, s16, v55
	v_pack_b32_f16 v25, v36, v25
	v_pack_b32_f16 v36, v38, v39
	v_lshlrev_b32_e32 v130, 2, v44
	ds_read2st64_b32 v[58:59], v1 offset0:224 offset1:232
	ds_read2st64_b32 v[38:39], v1 offset0:48 offset1:56
	;; [unrolled: 1-line block ×5, first 2 shown]
	s_waitcnt lgkmcnt(0)
	s_barrier
	ds_write2st64_b32 v130, v25, v36 offset1:2
	v_pack_b32_f16 v25, v56, v60
	v_pack_b32_f16 v36, v40, v42
	ds_write2st64_b32 v130, v25, v36 offset0:4 offset1:6
	v_lshrrev_b32_e32 v25, 16, v45
	v_mul_f16_sdwa v40, v45, v22 dst_sel:DWORD dst_unused:UNUSED_PAD src0_sel:DWORD src1_sel:WORD_1
	v_mul_f16_sdwa v36, v25, v22 dst_sel:DWORD dst_unused:UNUSED_PAD src0_sel:DWORD src1_sel:WORD_1
	v_fma_f16 v25, v25, v22, v40
	v_lshrrev_b32_e32 v40, 16, v43
	v_mul_f16_sdwa v42, v40, v23 dst_sel:DWORD dst_unused:UNUSED_PAD src0_sel:DWORD src1_sel:WORD_1
	v_fma_f16 v42, v43, v23, -v42
	v_mul_f16_sdwa v43, v43, v23 dst_sel:DWORD dst_unused:UNUSED_PAD src0_sel:DWORD src1_sel:WORD_1
	v_fma_f16 v40, v40, v23, v43
	v_lshrrev_b32_e32 v43, 16, v41
	v_mul_f16_sdwa v44, v43, v24 dst_sel:DWORD dst_unused:UNUSED_PAD src0_sel:DWORD src1_sel:WORD_1
	v_fma_f16 v44, v41, v24, -v44
	v_mul_f16_sdwa v41, v41, v24 dst_sel:DWORD dst_unused:UNUSED_PAD src0_sel:DWORD src1_sel:WORD_1
	v_fma_f16 v36, v45, v22, -v36
	v_fma_f16 v41, v43, v24, v41
	v_lshrrev_b32_e32 v43, 16, v37
	v_sub_f16_e32 v42, v37, v42
	v_sub_f16_e32 v40, v43, v40
	;; [unrolled: 1-line block ×4, first 2 shown]
	v_fma_f16 v37, v37, 2.0, -v42
	v_fma_f16 v43, v43, 2.0, -v40
	;; [unrolled: 1-line block ×4, first 2 shown]
	v_sub_f16_e32 v36, v37, v36
	v_sub_f16_e32 v25, v43, v25
	v_fma_f16 v37, v37, 2.0, -v36
	v_fma_f16 v43, v43, 2.0, -v25
	v_pack_b32_f16 v37, v37, v43
	v_sub_f16_e32 v41, v42, v41
	v_add_f16_e32 v43, v40, v44
	v_fma_f16 v42, v42, 2.0, -v41
	v_fma_f16 v40, v40, 2.0, -v43
	v_pack_b32_f16 v40, v42, v40
	v_lshlrev_b32_e32 v42, 2, v54
	s_movk_i32 s16, 0xe00
	v_and_or_b32 v42, v42, s16, v55
	v_lshlrev_b32_e32 v131, 2, v42
	ds_write2st64_b32 v131, v37, v40 offset1:2
	v_lshrrev_b32_e32 v37, 16, v34
	v_pack_b32_f16 v25, v36, v25
	v_pack_b32_f16 v40, v41, v43
	ds_write2st64_b32 v131, v25, v40 offset0:4 offset1:6
	v_mul_f16_sdwa v25, v37, v22 dst_sel:DWORD dst_unused:UNUSED_PAD src0_sel:DWORD src1_sel:WORD_1
	v_fma_f16 v25, v34, v22, -v25
	v_mul_f16_sdwa v34, v34, v22 dst_sel:DWORD dst_unused:UNUSED_PAD src0_sel:DWORD src1_sel:WORD_1
	v_lshrrev_b32_e32 v36, 16, v32
	v_fma_f16 v34, v37, v22, v34
	v_mul_f16_sdwa v37, v32, v23 dst_sel:DWORD dst_unused:UNUSED_PAD src0_sel:DWORD src1_sel:WORD_1
	v_lshrrev_b32_e32 v41, 16, v30
	v_fma_f16 v37, v36, v23, v37
	v_mul_f16_sdwa v36, v36, v23 dst_sel:DWORD dst_unused:UNUSED_PAD src0_sel:DWORD src1_sel:WORD_1
	v_fma_f16 v32, v32, v23, -v36
	v_mul_f16_sdwa v36, v30, v24 dst_sel:DWORD dst_unused:UNUSED_PAD src0_sel:DWORD src1_sel:WORD_1
	v_mul_f16_sdwa v40, v41, v24 dst_sel:DWORD dst_unused:UNUSED_PAD src0_sel:DWORD src1_sel:WORD_1
	v_fma_f16 v36, v41, v24, v36
	v_fma_f16 v30, v30, v24, -v40
	v_lshrrev_b32_e32 v40, 16, v28
	v_sub_f16_e32 v32, v28, v32
	v_sub_f16_e32 v37, v40, v37
	;; [unrolled: 1-line block ×4, first 2 shown]
	v_fma_f16 v40, v40, 2.0, -v37
	v_fma_f16 v25, v25, 2.0, -v30
	;; [unrolled: 1-line block ×4, first 2 shown]
	v_sub_f16_e32 v41, v28, v25
	v_sub_f16_e32 v34, v40, v34
	v_fma_f16 v25, v28, 2.0, -v41
	v_fma_f16 v28, v40, 2.0, -v34
	v_sub_f16_e32 v36, v32, v36
	v_add_f16_e32 v30, v37, v30
	v_pack_b32_f16 v28, v25, v28
	v_fma_f16 v25, v32, 2.0, -v36
	v_fma_f16 v32, v37, 2.0, -v30
	s_movk_i32 s16, 0x1600
	v_pack_b32_f16 v32, v25, v32
	v_and_or_b32 v25, v75, s16, v55
	v_lshlrev_b32_e32 v25, 2, v25
	ds_write2st64_b32 v25, v28, v32 offset1:2
	v_pack_b32_f16 v28, v41, v34
	v_pack_b32_f16 v30, v36, v30
	v_lshrrev_b32_e32 v34, 16, v35
	ds_write2st64_b32 v25, v28, v30 offset0:4 offset1:6
	v_mul_f16_sdwa v30, v34, v22 dst_sel:DWORD dst_unused:UNUSED_PAD src0_sel:DWORD src1_sel:WORD_1
	v_lshrrev_b32_e32 v28, 16, v33
	v_fma_f16 v30, v35, v22, -v30
	v_mul_f16_sdwa v35, v35, v22 dst_sel:DWORD dst_unused:UNUSED_PAD src0_sel:DWORD src1_sel:WORD_1
	v_fma_f16 v34, v34, v22, v35
	v_mul_f16_sdwa v35, v28, v23 dst_sel:DWORD dst_unused:UNUSED_PAD src0_sel:DWORD src1_sel:WORD_1
	v_lshrrev_b32_e32 v36, 16, v31
	v_fma_f16 v35, v33, v23, -v35
	v_mul_f16_sdwa v33, v33, v23 dst_sel:DWORD dst_unused:UNUSED_PAD src0_sel:DWORD src1_sel:WORD_1
	v_fma_f16 v28, v28, v23, v33
	v_mul_f16_sdwa v33, v36, v24 dst_sel:DWORD dst_unused:UNUSED_PAD src0_sel:DWORD src1_sel:WORD_1
	v_fma_f16 v33, v31, v24, -v33
	v_mul_f16_sdwa v31, v31, v24 dst_sel:DWORD dst_unused:UNUSED_PAD src0_sel:DWORD src1_sel:WORD_1
	v_lshrrev_b32_e32 v32, 16, v29
	v_fma_f16 v31, v36, v24, v31
	v_sub_f16_e32 v35, v29, v35
	v_sub_f16_e32 v28, v32, v28
	;; [unrolled: 1-line block ×4, first 2 shown]
	v_fma_f16 v30, v30, 2.0, -v33
	v_fma_f16 v34, v34, 2.0, -v31
	v_sub_f16_e32 v31, v35, v31
	v_add_f16_e32 v33, v28, v33
	v_fma_f16 v29, v29, 2.0, -v35
	v_fma_f16 v32, v32, 2.0, -v28
	;; [unrolled: 1-line block ×4, first 2 shown]
	s_movk_i32 s16, 0x1e00
	v_sub_f16_e32 v30, v29, v30
	v_sub_f16_e32 v34, v32, v34
	v_pack_b32_f16 v28, v35, v28
	v_and_or_b32 v35, v90, s16, v55
	v_lshrrev_b32_e32 v41, 16, v26
	v_fma_f16 v29, v29, 2.0, -v30
	v_lshlrev_b32_e32 v37, 2, v35
	v_pack_b32_f16 v30, v30, v34
	v_pack_b32_f16 v31, v31, v33
	v_lshrrev_b32_e32 v36, 16, v16
	ds_write2st64_b32 v37, v30, v31 offset0:4 offset1:6
	v_mul_f16_sdwa v30, v41, v22 dst_sel:DWORD dst_unused:UNUSED_PAD src0_sel:DWORD src1_sel:WORD_1
	v_mul_f16_sdwa v35, v16, v23 dst_sel:DWORD dst_unused:UNUSED_PAD src0_sel:DWORD src1_sel:WORD_1
	v_lshrrev_b32_e32 v42, 16, v58
	v_fma_f16 v30, v26, v22, -v30
	v_mul_f16_sdwa v26, v26, v22 dst_sel:DWORD dst_unused:UNUSED_PAD src0_sel:DWORD src1_sel:WORD_1
	v_fma_f16 v35, v36, v23, v35
	v_mul_f16_sdwa v36, v36, v23 dst_sel:DWORD dst_unused:UNUSED_PAD src0_sel:DWORD src1_sel:WORD_1
	v_fma_f16 v26, v41, v22, v26
	v_fma_f16 v16, v16, v23, -v36
	v_mul_f16_sdwa v36, v58, v24 dst_sel:DWORD dst_unused:UNUSED_PAD src0_sel:DWORD src1_sel:WORD_1
	v_mul_f16_sdwa v41, v42, v24 dst_sel:DWORD dst_unused:UNUSED_PAD src0_sel:DWORD src1_sel:WORD_1
	v_lshrrev_b32_e32 v40, 16, v14
	v_fma_f16 v36, v42, v24, v36
	v_fma_f16 v41, v58, v24, -v41
	v_sub_f16_e32 v16, v14, v16
	v_sub_f16_e32 v35, v40, v35
	;; [unrolled: 1-line block ×4, first 2 shown]
	v_fma_f16 v32, v32, 2.0, -v34
	v_fma_f16 v14, v14, 2.0, -v16
	;; [unrolled: 1-line block ×5, first 2 shown]
	v_sub_f16_e32 v36, v16, v36
	v_add_f16_e32 v41, v35, v41
	v_pack_b32_f16 v29, v29, v32
	v_lshrrev_b32_e32 v32, 16, v27
	v_sub_f16_e32 v30, v14, v30
	v_sub_f16_e32 v26, v40, v26
	v_fma_f16 v16, v16, 2.0, -v36
	v_fma_f16 v35, v35, 2.0, -v41
	s_movk_i32 s16, 0x2600
	v_mul_f16_sdwa v31, v32, v22 dst_sel:DWORD dst_unused:UNUSED_PAD src0_sel:DWORD src1_sel:WORD_1
	v_fma_f16 v14, v14, 2.0, -v30
	v_fma_f16 v40, v40, 2.0, -v26
	v_pack_b32_f16 v16, v16, v35
	v_and_or_b32 v35, v72, s16, v55
	ds_write2st64_b32 v37, v29, v28 offset1:2
	v_lshrrev_b32_e32 v28, 16, v17
	v_fma_f16 v31, v27, v22, -v31
	v_mul_f16_sdwa v27, v27, v22 dst_sel:DWORD dst_unused:UNUSED_PAD src0_sel:DWORD src1_sel:WORD_1
	v_pack_b32_f16 v14, v14, v40
	v_lshlrev_b32_e32 v127, 2, v35
	v_lshrrev_b32_e32 v34, 16, v50
	v_fma_f16 v27, v32, v22, v27
	v_mul_f16_sdwa v32, v28, v23 dst_sel:DWORD dst_unused:UNUSED_PAD src0_sel:DWORD src1_sel:WORD_1
	v_lshrrev_b32_e32 v43, 16, v51
	v_lshrrev_b32_e32 v40, 16, v49
	ds_write2st64_b32 v127, v14, v16 offset1:2
	v_mul_f16_sdwa v16, v50, v22 dst_sel:DWORD dst_unused:UNUSED_PAD src0_sel:DWORD src1_sel:WORD_1
	v_mul_f16_sdwa v35, v51, v22 dst_sel:DWORD dst_unused:UNUSED_PAD src0_sel:DWORD src1_sel:WORD_1
	;; [unrolled: 1-line block ×3, first 2 shown]
	v_lshrrev_b32_e32 v29, 16, v59
	v_fma_f16 v32, v17, v23, -v32
	v_mul_f16_sdwa v17, v17, v23 dst_sel:DWORD dst_unused:UNUSED_PAD src0_sel:DWORD src1_sel:WORD_1
	v_mul_f16_sdwa v42, v59, v24 dst_sel:DWORD dst_unused:UNUSED_PAD src0_sel:DWORD src1_sel:WORD_1
	;; [unrolled: 1-line block ×3, first 2 shown]
	v_fma_f16 v16, v34, v22, v16
	v_mul_f16_sdwa v34, v43, v22 dst_sel:DWORD dst_unused:UNUSED_PAD src0_sel:DWORD src1_sel:WORD_1
	v_fma_f16 v35, v43, v22, v35
	v_mul_f16_sdwa v43, v40, v23 dst_sel:DWORD dst_unused:UNUSED_PAD src0_sel:DWORD src1_sel:WORD_1
	v_lshrrev_b32_e32 v45, 16, v46
	v_fma_f16 v40, v40, v23, v44
	v_mul_f16_sdwa v44, v46, v24 dst_sel:DWORD dst_unused:UNUSED_PAD src0_sel:DWORD src1_sel:WORD_1
	v_lshrrev_b32_e32 v33, 16, v48
	v_fma_f16 v17, v28, v23, v17
	v_mul_f16_sdwa v28, v29, v24 dst_sel:DWORD dst_unused:UNUSED_PAD src0_sel:DWORD src1_sel:WORD_1
	v_fma_f16 v29, v29, v24, v42
	v_mul_f16_sdwa v42, v48, v23 dst_sel:DWORD dst_unused:UNUSED_PAD src0_sel:DWORD src1_sel:WORD_1
	;; [unrolled: 2-line block ×4, first 2 shown]
	v_fma_f16 v45, v46, v24, -v45
	v_lshrrev_b32_e32 v46, 16, v47
	v_fma_f16 v33, v48, v23, -v33
	v_mul_f16_sdwa v48, v46, v24 dst_sel:DWORD dst_unused:UNUSED_PAD src0_sel:DWORD src1_sel:WORD_1
	v_fma_f16 v48, v47, v24, -v48
	v_mul_f16_sdwa v47, v47, v24 dst_sel:DWORD dst_unused:UNUSED_PAD src0_sel:DWORD src1_sel:WORD_1
	v_fma_f16 v28, v59, v24, -v28
	v_fma_f16 v46, v46, v24, v47
	v_lshrrev_b32_e32 v47, 16, v15
	v_sub_f16_e32 v32, v15, v32
	v_sub_f16_e32 v17, v47, v17
	;; [unrolled: 1-line block ×4, first 2 shown]
	v_fma_f16 v15, v15, 2.0, -v32
	v_pack_b32_f16 v26, v30, v26
	v_pack_b32_f16 v30, v36, v41
	v_fma_f16 v36, v47, 2.0, -v17
	v_fma_f16 v31, v31, 2.0, -v28
	;; [unrolled: 1-line block ×3, first 2 shown]
	v_fma_f16 v14, v50, v22, -v14
	v_fma_f16 v43, v49, v23, -v43
	v_lshrrev_b32_e32 v49, 16, v38
	v_sub_f16_e32 v31, v15, v31
	v_sub_f16_e32 v27, v36, v27
	;; [unrolled: 1-line block ×3, first 2 shown]
	v_add_f16_e32 v28, v17, v28
	s_movk_i32 s16, 0x2e00
	v_sub_f16_e32 v33, v38, v33
	v_fma_f16 v15, v15, 2.0, -v31
	v_fma_f16 v36, v36, 2.0, -v27
	;; [unrolled: 1-line block ×4, first 2 shown]
	v_sub_f16_e32 v41, v49, v42
	v_sub_f16_e32 v45, v14, v45
	;; [unrolled: 1-line block ×3, first 2 shown]
	ds_write2st64_b32 v127, v26, v30 offset0:4 offset1:6
	v_and_or_b32 v26, v85, s16, v55
	v_fma_f16 v38, v38, 2.0, -v33
	v_fma_f16 v42, v49, 2.0, -v41
	;; [unrolled: 1-line block ×4, first 2 shown]
	v_lshlrev_b32_e32 v132, 2, v26
	v_pack_b32_f16 v15, v15, v36
	v_pack_b32_f16 v17, v32, v17
	v_fma_f16 v34, v51, v22, -v34
	v_lshrrev_b32_e32 v50, 16, v39
	v_sub_f16_e32 v14, v38, v14
	v_sub_f16_e32 v16, v42, v16
	;; [unrolled: 1-line block ×3, first 2 shown]
	v_add_f16_e32 v45, v41, v45
	ds_write2st64_b32 v132, v15, v17 offset1:2
	v_pack_b32_f16 v15, v31, v27
	v_pack_b32_f16 v17, v29, v28
	s_movk_i32 s16, 0x3600
	v_sub_f16_e32 v43, v39, v43
	v_fma_f16 v38, v38, 2.0, -v14
	v_fma_f16 v42, v42, 2.0, -v16
	;; [unrolled: 1-line block ×4, first 2 shown]
	v_sub_f16_e32 v40, v50, v40
	v_sub_f16_e32 v48, v34, v48
	;; [unrolled: 1-line block ×3, first 2 shown]
	ds_write2st64_b32 v132, v15, v17 offset0:4 offset1:6
	v_and_or_b32 v15, v78, s16, v55
	v_fma_f16 v39, v39, 2.0, -v43
	v_fma_f16 v47, v50, 2.0, -v40
	;; [unrolled: 1-line block ×4, first 2 shown]
	v_lshlrev_b32_e32 v133, 2, v15
	v_pack_b32_f16 v15, v38, v42
	v_pack_b32_f16 v17, v33, v41
	v_sub_f16_e32 v34, v39, v34
	v_sub_f16_e32 v35, v47, v35
	;; [unrolled: 1-line block ×3, first 2 shown]
	v_add_f16_e32 v48, v40, v48
	ds_write2st64_b32 v133, v15, v17 offset1:2
	v_pack_b32_f16 v14, v14, v16
	v_pack_b32_f16 v15, v44, v45
	s_movk_i32 s16, 0x3e00
	v_fma_f16 v39, v39, 2.0, -v34
	v_fma_f16 v47, v47, 2.0, -v35
	;; [unrolled: 1-line block ×4, first 2 shown]
	ds_write2st64_b32 v133, v14, v15 offset0:4 offset1:6
	v_and_or_b32 v14, v89, s16, v55
	v_lshlrev_b32_e32 v134, 2, v14
	v_pack_b32_f16 v14, v39, v47
	v_pack_b32_f16 v15, v43, v40
	ds_write2st64_b32 v134, v14, v15 offset1:2
	v_pack_b32_f16 v14, v34, v35
	v_pack_b32_f16 v15, v46, v48
	v_mad_u64_u32 v[26:27], s[10:11], v0, 28, s[10:11]
	ds_write2st64_b32 v134, v14, v15 offset0:4 offset1:6
	s_waitcnt lgkmcnt(0)
	s_barrier
	global_load_dwordx4 v[14:17], v[26:27], off offset:2016
	global_load_dwordx3 v[34:36], v[26:27], off offset:2032
	ds_read2st64_b32 v[38:39], v1 offset0:32 offset1:40
	ds_read2st64_b32 v[32:33], v1 offset0:64 offset1:72
	;; [unrolled: 1-line block ×4, first 2 shown]
	s_movk_i32 s10, 0x3000
	s_waitcnt lgkmcnt(3)
	v_lshrrev_b32_e32 v40, 16, v38
	s_waitcnt lgkmcnt(2)
	v_lshrrev_b32_e32 v41, 16, v32
	;; [unrolled: 2-line block ×4, first 2 shown]
	s_waitcnt vmcnt(1)
	v_mul_f16_sdwa v44, v40, v14 dst_sel:DWORD dst_unused:UNUSED_PAD src0_sel:DWORD src1_sel:WORD_1
	v_fma_f16 v48, v38, v14, -v44
	v_mul_f16_sdwa v38, v38, v14 dst_sel:DWORD dst_unused:UNUSED_PAD src0_sel:DWORD src1_sel:WORD_1
	v_fma_f16 v38, v40, v14, v38
	v_mul_f16_sdwa v40, v41, v15 dst_sel:DWORD dst_unused:UNUSED_PAD src0_sel:DWORD src1_sel:WORD_1
	v_fma_f16 v49, v32, v15, -v40
	v_mul_f16_sdwa v40, v30, v16 dst_sel:DWORD dst_unused:UNUSED_PAD src0_sel:DWORD src1_sel:WORD_1
	v_mul_f16_sdwa v32, v32, v15 dst_sel:DWORD dst_unused:UNUSED_PAD src0_sel:DWORD src1_sel:WORD_1
	v_fma_f16 v50, v42, v16, v40
	v_mul_f16_sdwa v40, v42, v16 dst_sel:DWORD dst_unused:UNUSED_PAD src0_sel:DWORD src1_sel:WORD_1
	v_fma_f16 v32, v41, v15, v32
	v_fma_f16 v30, v30, v16, -v40
	ds_read2st64_b32 v[40:41], v1 offset0:160 offset1:168
	v_mul_f16_sdwa v42, v28, v17 dst_sel:DWORD dst_unused:UNUSED_PAD src0_sel:DWORD src1_sel:WORD_1
	v_fma_f16 v51, v43, v17, v42
	v_mul_f16_sdwa v42, v43, v17 dst_sel:DWORD dst_unused:UNUSED_PAD src0_sel:DWORD src1_sel:WORD_1
	v_fma_f16 v28, v28, v17, -v42
	ds_read2st64_b32 v[42:43], v1 offset0:192 offset1:200
	s_waitcnt lgkmcnt(1)
	v_lshrrev_b32_e32 v44, 16, v40
	s_waitcnt vmcnt(0)
	v_mul_f16_sdwa v45, v40, v34 dst_sel:DWORD dst_unused:UNUSED_PAD src0_sel:DWORD src1_sel:WORD_1
	v_fma_f16 v54, v44, v34, v45
	v_mul_f16_sdwa v44, v44, v34 dst_sel:DWORD dst_unused:UNUSED_PAD src0_sel:DWORD src1_sel:WORD_1
	v_fma_f16 v40, v40, v34, -v44
	s_waitcnt lgkmcnt(0)
	v_lshrrev_b32_e32 v46, 16, v42
	ds_read2st64_b32 v[44:45], v1 offset0:224 offset1:232
	v_mul_f16_sdwa v47, v42, v35 dst_sel:DWORD dst_unused:UNUSED_PAD src0_sel:DWORD src1_sel:WORD_1
	v_fma_f16 v55, v46, v35, v47
	v_mul_f16_sdwa v46, v46, v35 dst_sel:DWORD dst_unused:UNUSED_PAD src0_sel:DWORD src1_sel:WORD_1
	v_fma_f16 v42, v42, v35, -v46
	ds_read2st64_b32 v[46:47], v1 offset1:8
	s_waitcnt lgkmcnt(1)
	v_lshrrev_b32_e32 v56, 16, v44
	v_mul_f16_sdwa v58, v44, v36 dst_sel:DWORD dst_unused:UNUSED_PAD src0_sel:DWORD src1_sel:WORD_1
	v_fma_f16 v58, v56, v36, v58
	v_mul_f16_sdwa v56, v56, v36 dst_sel:DWORD dst_unused:UNUSED_PAD src0_sel:DWORD src1_sel:WORD_1
	v_fma_f16 v44, v44, v36, -v56
	s_waitcnt lgkmcnt(0)
	v_lshrrev_b32_e32 v56, 16, v46
	v_sub_f16_e32 v28, v46, v28
	v_sub_f16_e32 v51, v56, v51
	;; [unrolled: 1-line block ×3, first 2 shown]
	v_fma_f16 v56, v56, 2.0, -v51
	v_sub_f16_e32 v42, v49, v42
	v_fma_f16 v32, v32, 2.0, -v55
	v_sub_f16_e32 v40, v48, v40
	v_sub_f16_e32 v54, v38, v54
	;; [unrolled: 1-line block ×5, first 2 shown]
	v_fma_f16 v49, v49, 2.0, -v42
	v_fma_f16 v48, v48, 2.0, -v40
	;; [unrolled: 1-line block ×5, first 2 shown]
	v_sub_f16_e32 v142, v40, v58
	v_fma_f16 v55, v28, 2.0, -v60
	v_fma_f16 v28, v46, 2.0, -v28
	v_sub_f16_e32 v32, v56, v32
	v_add_f16_e32 v42, v51, v42
	v_add_f16_e32 v44, v54, v44
	v_fma_f16 v40, v40, 2.0, -v142
	v_sub_f16_e32 v46, v28, v49
	v_fma_f16 v49, v56, 2.0, -v32
	v_sub_f16_e32 v30, v48, v30
	v_sub_f16_e32 v56, v38, v50
	v_fma_f16 v51, v51, 2.0, -v42
	v_fma_f16 v54, v54, 2.0, -v44
	v_fma_f16 v58, v40, s8, v55
	v_fma_f16 v28, v28, 2.0, -v46
	v_fma_f16 v48, v48, 2.0, -v30
	;; [unrolled: 1-line block ×3, first 2 shown]
	v_fma_f16 v143, v54, s8, v58
	v_fma_f16 v54, v54, s8, v51
	v_sub_f16_e32 v144, v28, v48
	v_sub_f16_e32 v38, v49, v38
	v_fma_f16 v40, v40, s9, v54
	v_fma_f16 v28, v28, 2.0, -v144
	v_fma_f16 v48, v49, 2.0, -v38
	v_pack_b32_f16 v28, v28, v48
	v_fma_f16 v48, v55, 2.0, -v143
	v_fma_f16 v49, v51, 2.0, -v40
	v_pack_b32_f16 v145, v48, v49
	ds_read2st64_b32 v[48:49], v1 offset0:16 offset1:24
	ds_read2st64_b32 v[54:55], v1 offset0:48 offset1:56
	;; [unrolled: 1-line block ×8, first 2 shown]
	s_waitcnt lgkmcnt(0)
	s_barrier
	ds_write2st64_b32 v1, v28, v145 offset1:8
	v_fma_f16 v28, v142, s9, v60
	v_fma_f16 v28, v44, s8, v28
	;; [unrolled: 1-line block ×3, first 2 shown]
	v_sub_f16_e32 v56, v46, v56
	v_add_f16_e32 v30, v32, v30
	v_fma_f16 v44, v142, s9, v44
	v_fma_f16 v46, v46, 2.0, -v56
	v_fma_f16 v32, v32, 2.0, -v30
	v_pack_b32_f16 v32, v46, v32
	v_fma_f16 v46, v60, 2.0, -v28
	v_fma_f16 v42, v42, 2.0, -v44
	v_pack_b32_f16 v42, v46, v42
	ds_write2st64_b32 v1, v32, v42 offset0:16 offset1:24
	v_pack_b32_f16 v32, v144, v38
	v_pack_b32_f16 v38, v143, v40
	;; [unrolled: 1-line block ×4, first 2 shown]
	ds_write2st64_b32 v1, v32, v38 offset0:32 offset1:40
	ds_write2st64_b32 v1, v30, v28 offset0:48 offset1:56
	v_lshrrev_b32_e32 v28, 16, v39
	v_mul_f16_sdwa v32, v39, v14 dst_sel:DWORD dst_unused:UNUSED_PAD src0_sel:DWORD src1_sel:WORD_1
	v_mul_f16_sdwa v30, v28, v14 dst_sel:DWORD dst_unused:UNUSED_PAD src0_sel:DWORD src1_sel:WORD_1
	v_fma_f16 v28, v28, v14, v32
	v_lshrrev_b32_e32 v32, 16, v33
	v_mul_f16_sdwa v38, v32, v15 dst_sel:DWORD dst_unused:UNUSED_PAD src0_sel:DWORD src1_sel:WORD_1
	v_fma_f16 v38, v33, v15, -v38
	v_mul_f16_sdwa v33, v33, v15 dst_sel:DWORD dst_unused:UNUSED_PAD src0_sel:DWORD src1_sel:WORD_1
	v_fma_f16 v32, v32, v15, v33
	v_lshrrev_b32_e32 v33, 16, v31
	v_fma_f16 v30, v39, v14, -v30
	v_mul_f16_sdwa v39, v33, v16 dst_sel:DWORD dst_unused:UNUSED_PAD src0_sel:DWORD src1_sel:WORD_1
	v_fma_f16 v39, v31, v16, -v39
	v_mul_f16_sdwa v31, v31, v16 dst_sel:DWORD dst_unused:UNUSED_PAD src0_sel:DWORD src1_sel:WORD_1
	v_fma_f16 v31, v33, v16, v31
	v_lshrrev_b32_e32 v33, 16, v29
	v_mul_f16_sdwa v40, v33, v17 dst_sel:DWORD dst_unused:UNUSED_PAD src0_sel:DWORD src1_sel:WORD_1
	v_fma_f16 v40, v29, v17, -v40
	v_mul_f16_sdwa v29, v29, v17 dst_sel:DWORD dst_unused:UNUSED_PAD src0_sel:DWORD src1_sel:WORD_1
	v_fma_f16 v29, v33, v17, v29
	v_lshrrev_b32_e32 v33, 16, v41
	;; [unrolled: 5-line block ×4, first 2 shown]
	v_mul_f16_sdwa v46, v43, v36 dst_sel:DWORD dst_unused:UNUSED_PAD src0_sel:DWORD src1_sel:WORD_1
	v_fma_f16 v46, v45, v36, -v46
	v_mul_f16_sdwa v45, v45, v36 dst_sel:DWORD dst_unused:UNUSED_PAD src0_sel:DWORD src1_sel:WORD_1
	v_fma_f16 v43, v43, v36, v45
	v_sub_f16_e32 v40, v47, v40
	v_lshrrev_b32_e32 v45, 16, v47
	v_sub_f16_e32 v41, v32, v41
	v_sub_f16_e32 v42, v30, v42
	;; [unrolled: 1-line block ×5, first 2 shown]
	v_fma_f16 v32, v32, 2.0, -v41
	v_sub_f16_e32 v33, v28, v33
	v_sub_f16_e32 v46, v39, v46
	v_fma_f16 v31, v31, 2.0, -v43
	v_sub_f16_e32 v41, v40, v41
	v_sub_f16_e32 v43, v42, v43
	v_fma_f16 v47, v47, 2.0, -v40
	v_fma_f16 v38, v38, 2.0, -v44
	;; [unrolled: 1-line block ×4, first 2 shown]
	v_add_f16_e32 v44, v29, v44
	v_fma_f16 v40, v40, 2.0, -v41
	v_add_f16_e32 v46, v33, v46
	v_fma_f16 v42, v42, 2.0, -v43
	v_fma_f16 v45, v45, 2.0, -v29
	v_fma_f16 v28, v28, 2.0, -v33
	v_fma_f16 v29, v29, 2.0, -v44
	v_fma_f16 v33, v33, 2.0, -v46
	v_fma_f16 v56, v42, s8, v40
	v_fma_f16 v56, v33, s8, v56
	;; [unrolled: 1-line block ×3, first 2 shown]
	v_sub_f16_e32 v38, v47, v38
	v_sub_f16_e32 v32, v45, v32
	;; [unrolled: 1-line block ×4, first 2 shown]
	v_fma_f16 v33, v42, s9, v33
	v_fma_f16 v42, v47, 2.0, -v38
	v_fma_f16 v45, v45, 2.0, -v32
	;; [unrolled: 1-line block ×4, first 2 shown]
	v_sub_f16_e32 v30, v42, v30
	v_sub_f16_e32 v28, v45, v28
	v_fma_f16 v42, v42, 2.0, -v30
	v_fma_f16 v45, v45, 2.0, -v28
	;; [unrolled: 1-line block ×4, first 2 shown]
	v_pack_b32_f16 v42, v42, v45
	v_pack_b32_f16 v29, v40, v29
	ds_write2st64_b32 v1, v42, v29 offset0:64 offset1:72
	v_fma_f16 v29, v43, s9, v41
	v_fma_f16 v40, v46, s9, v44
	v_sub_f16_e32 v31, v38, v31
	v_add_f16_e32 v39, v32, v39
	v_fma_f16 v29, v46, s8, v29
	v_fma_f16 v40, v43, s9, v40
	v_fma_f16 v38, v38, 2.0, -v31
	v_fma_f16 v32, v32, 2.0, -v39
	v_pack_b32_f16 v32, v38, v32
	v_fma_f16 v38, v41, 2.0, -v29
	v_fma_f16 v41, v44, 2.0, -v40
	v_pack_b32_f16 v28, v30, v28
	v_pack_b32_f16 v30, v56, v33
	;; [unrolled: 1-line block ×3, first 2 shown]
	ds_write2st64_b32 v1, v28, v30 offset0:96 offset1:104
	v_pack_b32_f16 v28, v31, v39
	v_pack_b32_f16 v29, v29, v40
	ds_write2st64_b32 v1, v32, v38 offset0:80 offset1:88
	ds_write2st64_b32 v1, v28, v29 offset0:112 offset1:120
	v_lshrrev_b32_e32 v28, 16, v54
	v_mul_f16_sdwa v29, v54, v14 dst_sel:DWORD dst_unused:UNUSED_PAD src0_sel:DWORD src1_sel:WORD_1
	v_lshrrev_b32_e32 v38, 16, v136
	v_mul_f16_sdwa v39, v136, v17 dst_sel:DWORD dst_unused:UNUSED_PAD src0_sel:DWORD src1_sel:WORD_1
	;; [unrolled: 2-line block ×3, first 2 shown]
	v_fma_f16 v29, v28, v14, v29
	v_mul_f16_sdwa v28, v28, v14 dst_sel:DWORD dst_unused:UNUSED_PAD src0_sel:DWORD src1_sel:WORD_1
	v_lshrrev_b32_e32 v30, 16, v58
	v_mul_f16_sdwa v31, v58, v15 dst_sel:DWORD dst_unused:UNUSED_PAD src0_sel:DWORD src1_sel:WORD_1
	v_lshrrev_b32_e32 v32, 16, v94
	v_mul_f16_sdwa v33, v94, v16 dst_sel:DWORD dst_unused:UNUSED_PAD src0_sel:DWORD src1_sel:WORD_1
	v_fma_f16 v39, v38, v17, v39
	v_mul_f16_sdwa v38, v38, v17 dst_sel:DWORD dst_unused:UNUSED_PAD src0_sel:DWORD src1_sel:WORD_1
	v_fma_f16 v41, v40, v34, v41
	v_mul_f16_sdwa v40, v40, v34 dst_sel:DWORD dst_unused:UNUSED_PAD src0_sel:DWORD src1_sel:WORD_1
	v_lshrrev_b32_e32 v42, 16, v140
	v_mul_f16_sdwa v43, v140, v35 dst_sel:DWORD dst_unused:UNUSED_PAD src0_sel:DWORD src1_sel:WORD_1
	v_lshrrev_b32_e32 v44, 16, v50
	v_mul_f16_sdwa v45, v50, v36 dst_sel:DWORD dst_unused:UNUSED_PAD src0_sel:DWORD src1_sel:WORD_1
	v_fma_f16 v28, v54, v14, -v28
	v_fma_f16 v31, v30, v15, v31
	v_mul_f16_sdwa v30, v30, v15 dst_sel:DWORD dst_unused:UNUSED_PAD src0_sel:DWORD src1_sel:WORD_1
	v_fma_f16 v33, v32, v16, v33
	v_mul_f16_sdwa v32, v32, v16 dst_sel:DWORD dst_unused:UNUSED_PAD src0_sel:DWORD src1_sel:WORD_1
	v_fma_f16 v38, v136, v17, -v38
	v_fma_f16 v40, v138, v34, -v40
	v_fma_f16 v43, v42, v35, v43
	v_mul_f16_sdwa v42, v42, v35 dst_sel:DWORD dst_unused:UNUSED_PAD src0_sel:DWORD src1_sel:WORD_1
	v_fma_f16 v45, v44, v36, v45
	v_mul_f16_sdwa v44, v44, v36 dst_sel:DWORD dst_unused:UNUSED_PAD src0_sel:DWORD src1_sel:WORD_1
	v_fma_f16 v30, v58, v15, -v30
	v_fma_f16 v32, v94, v16, -v32
	;; [unrolled: 1-line block ×4, first 2 shown]
	v_sub_f16_e32 v38, v48, v38
	v_lshrrev_b32_e32 v46, 16, v48
	v_sub_f16_e32 v43, v31, v43
	v_sub_f16_e32 v40, v28, v40
	;; [unrolled: 1-line block ×5, first 2 shown]
	v_fma_f16 v31, v31, 2.0, -v43
	v_sub_f16_e32 v41, v29, v41
	v_sub_f16_e32 v44, v32, v44
	v_fma_f16 v33, v33, 2.0, -v45
	v_sub_f16_e32 v43, v38, v43
	v_sub_f16_e32 v45, v40, v45
	v_fma_f16 v30, v30, 2.0, -v42
	v_fma_f16 v28, v28, 2.0, -v40
	;; [unrolled: 1-line block ×3, first 2 shown]
	v_add_f16_e32 v42, v39, v42
	v_add_f16_e32 v44, v41, v44
	v_fma_f16 v40, v40, 2.0, -v45
	v_fma_f16 v47, v38, 2.0, -v43
	;; [unrolled: 1-line block ×6, first 2 shown]
	v_fma_f16 v50, v40, s8, v47
	v_fma_f16 v38, v48, 2.0, -v38
	v_fma_f16 v50, v41, s8, v50
	v_fma_f16 v41, v41, s8, v39
	v_sub_f16_e32 v30, v38, v30
	v_sub_f16_e32 v31, v46, v31
	;; [unrolled: 1-line block ×4, first 2 shown]
	v_fma_f16 v40, v40, s9, v41
	v_fma_f16 v38, v38, 2.0, -v30
	v_fma_f16 v41, v46, 2.0, -v31
	;; [unrolled: 1-line block ×4, first 2 shown]
	v_sub_f16_e32 v28, v38, v28
	v_sub_f16_e32 v29, v41, v29
	v_fma_f16 v38, v38, 2.0, -v28
	v_fma_f16 v41, v41, 2.0, -v29
	v_pack_b32_f16 v38, v38, v41
	v_fma_f16 v41, v47, 2.0, -v50
	v_fma_f16 v39, v39, 2.0, -v40
	v_pack_b32_f16 v39, v41, v39
	ds_write2st64_b32 v1, v38, v39 offset0:128 offset1:136
	v_fma_f16 v38, v45, s9, v43
	v_fma_f16 v39, v44, s9, v42
	v_sub_f16_e32 v33, v30, v33
	v_add_f16_e32 v32, v31, v32
	v_fma_f16 v38, v44, s8, v38
	v_fma_f16 v39, v45, s9, v39
	v_fma_f16 v30, v30, 2.0, -v33
	v_fma_f16 v31, v31, 2.0, -v32
	v_pack_b32_f16 v30, v30, v31
	v_fma_f16 v31, v43, 2.0, -v38
	v_fma_f16 v41, v42, 2.0, -v39
	v_pack_b32_f16 v28, v28, v29
	v_pack_b32_f16 v29, v50, v40
	;; [unrolled: 1-line block ×3, first 2 shown]
	ds_write2st64_b32 v1, v28, v29 offset0:160 offset1:168
	v_pack_b32_f16 v28, v33, v32
	v_pack_b32_f16 v29, v38, v39
	ds_write2st64_b32 v1, v30, v31 offset0:144 offset1:152
	ds_write2st64_b32 v1, v28, v29 offset0:176 offset1:184
	v_lshrrev_b32_e32 v28, 16, v55
	v_mul_f16_sdwa v30, v55, v14 dst_sel:DWORD dst_unused:UNUSED_PAD src0_sel:DWORD src1_sel:WORD_1
	v_mul_f16_sdwa v29, v28, v14 dst_sel:DWORD dst_unused:UNUSED_PAD src0_sel:DWORD src1_sel:WORD_1
	v_fma_f16 v28, v28, v14, v30
	v_lshrrev_b32_e32 v30, 16, v59
	v_mul_f16_sdwa v32, v59, v15 dst_sel:DWORD dst_unused:UNUSED_PAD src0_sel:DWORD src1_sel:WORD_1
	v_mul_f16_sdwa v31, v30, v15 dst_sel:DWORD dst_unused:UNUSED_PAD src0_sel:DWORD src1_sel:WORD_1
	v_fma_f16 v30, v30, v15, v32
	;; [unrolled: 4-line block ×6, first 2 shown]
	v_lshrrev_b32_e32 v44, 16, v51
	v_mul_f16_sdwa v46, v51, v36 dst_sel:DWORD dst_unused:UNUSED_PAD src0_sel:DWORD src1_sel:WORD_1
	v_fma_f16 v29, v55, v14, -v29
	v_fma_f16 v39, v137, v17, -v39
	;; [unrolled: 1-line block ×3, first 2 shown]
	v_mul_f16_sdwa v45, v44, v36 dst_sel:DWORD dst_unused:UNUSED_PAD src0_sel:DWORD src1_sel:WORD_1
	v_fma_f16 v44, v44, v36, v46
	v_fma_f16 v31, v59, v15, -v31
	v_fma_f16 v33, v95, v16, -v33
	;; [unrolled: 1-line block ×4, first 2 shown]
	v_sub_f16_e32 v39, v49, v39
	v_lshrrev_b32_e32 v46, 16, v49
	v_sub_f16_e32 v42, v30, v42
	v_sub_f16_e32 v41, v29, v41
	;; [unrolled: 1-line block ×5, first 2 shown]
	v_fma_f16 v30, v30, 2.0, -v42
	v_sub_f16_e32 v40, v28, v40
	v_sub_f16_e32 v45, v33, v45
	v_fma_f16 v32, v32, 2.0, -v44
	v_sub_f16_e32 v42, v39, v42
	v_sub_f16_e32 v44, v41, v44
	v_fma_f16 v47, v49, 2.0, -v39
	v_fma_f16 v31, v31, 2.0, -v43
	;; [unrolled: 1-line block ×4, first 2 shown]
	v_add_f16_e32 v43, v38, v43
	v_fma_f16 v39, v39, 2.0, -v42
	v_add_f16_e32 v45, v40, v45
	v_fma_f16 v41, v41, 2.0, -v44
	v_fma_f16 v46, v46, 2.0, -v38
	;; [unrolled: 1-line block ×5, first 2 shown]
	v_fma_f16 v48, v41, s8, v39
	v_fma_f16 v48, v40, s8, v48
	;; [unrolled: 1-line block ×7, first 2 shown]
	v_sub_f16_e32 v31, v47, v31
	v_sub_f16_e32 v30, v46, v30
	;; [unrolled: 1-line block ×4, first 2 shown]
	v_fma_f16 v44, v44, s9, v45
	v_fma_f16 v45, v47, 2.0, -v31
	v_fma_f16 v46, v46, 2.0, -v30
	;; [unrolled: 1-line block ×4, first 2 shown]
	v_sub_f16_e32 v29, v45, v29
	v_sub_f16_e32 v28, v46, v28
	v_fma_f16 v45, v45, 2.0, -v29
	v_fma_f16 v46, v46, 2.0, -v28
	v_sub_f16_e32 v32, v31, v32
	v_add_f16_e32 v33, v30, v33
	v_pack_b32_f16 v28, v29, v28
	v_pack_b32_f16 v29, v48, v40
	ds_write2st64_b32 v1, v28, v29 offset0:224 offset1:232
	v_pack_b32_f16 v28, v32, v33
	v_pack_b32_f16 v29, v41, v44
	ds_write2st64_b32 v1, v28, v29 offset0:240 offset1:248
	v_sub_co_u32_e32 v29, vcc, v26, v52
	v_fma_f16 v30, v30, 2.0, -v33
	s_nop 0
	v_subbrev_co_u32_e32 v33, vcc, 0, v27, vcc
	v_fma_f16 v39, v39, 2.0, -v48
	v_fma_f16 v38, v38, 2.0, -v40
	;; [unrolled: 1-line block ×5, first 2 shown]
	v_add_co_u32_e32 v26, vcc, s10, v29
	v_pack_b32_f16 v45, v45, v46
	v_pack_b32_f16 v38, v39, v38
	;; [unrolled: 1-line block ×4, first 2 shown]
	v_addc_co_u32_e32 v27, vcc, 0, v33, vcc
	ds_write2st64_b32 v1, v45, v38 offset0:192 offset1:200
	ds_write2st64_b32 v1, v30, v31 offset0:208 offset1:216
	s_waitcnt lgkmcnt(0)
	s_barrier
	global_load_dwordx3 v[30:32], v[26:27], off offset:4064
	s_movk_i32 s10, 0x5000
	v_add_co_u32_e32 v26, vcc, s10, v29
	s_movk_i32 s10, 0x6000
	s_nop 0
	v_addc_co_u32_e32 v27, vcc, 0, v33, vcc
	global_load_dwordx3 v[26:28], v[26:27], off offset:2016
	ds_read2st64_b32 v[38:39], v1 offset0:64 offset1:72
	ds_read2st64_b32 v[40:41], v1 offset0:128 offset1:136
	s_waitcnt lgkmcnt(1)
	v_lshrrev_b32_e32 v45, 16, v38
	v_lshrrev_b32_e32 v47, 16, v39
	s_waitcnt lgkmcnt(0)
	v_lshrrev_b32_e32 v48, 16, v41
	v_lshrrev_b32_e32 v46, 16, v40
	s_waitcnt vmcnt(1)
	v_mul_f16_sdwa v42, v45, v30 dst_sel:DWORD dst_unused:UNUSED_PAD src0_sel:DWORD src1_sel:WORD_1
	v_fma_f16 v50, v38, v30, -v42
	v_add_co_u32_e32 v42, vcc, s10, v29
	v_mul_f16_sdwa v38, v38, v30 dst_sel:DWORD dst_unused:UNUSED_PAD src0_sel:DWORD src1_sel:WORD_1
	s_nop 0
	v_addc_co_u32_e32 v43, vcc, 0, v33, vcc
	global_load_dwordx3 v[42:44], v[42:43], off offset:4064
	v_fma_f16 v45, v45, v30, v38
	s_waitcnt vmcnt(1)
	v_mul_f16_sdwa v38, v47, v26 dst_sel:DWORD dst_unused:UNUSED_PAD src0_sel:DWORD src1_sel:WORD_1
	v_fma_f16 v51, v39, v26, -v38
	v_mul_f16_sdwa v38, v39, v26 dst_sel:DWORD dst_unused:UNUSED_PAD src0_sel:DWORD src1_sel:WORD_1
	v_mul_f16_sdwa v39, v40, v31 dst_sel:DWORD dst_unused:UNUSED_PAD src0_sel:DWORD src1_sel:WORD_1
	v_fma_f16 v55, v47, v26, v38
	v_mul_f16_sdwa v38, v48, v27 dst_sel:DWORD dst_unused:UNUSED_PAD src0_sel:DWORD src1_sel:WORD_1
	s_mov_b32 s10, 0x8000
	v_fma_f16 v52, v46, v31, v39
	v_mul_f16_sdwa v39, v46, v31 dst_sel:DWORD dst_unused:UNUSED_PAD src0_sel:DWORD src1_sel:WORD_1
	v_fma_f16 v56, v41, v27, -v38
	v_add_co_u32_e32 v38, vcc, s10, v29
	v_fma_f16 v54, v40, v31, -v39
	s_nop 0
	v_addc_co_u32_e32 v39, vcc, 0, v33, vcc
	global_load_dwordx3 v[38:40], v[38:39], off offset:2016
	ds_read2st64_b32 v[46:47], v1 offset0:192 offset1:200
	v_mul_f16_sdwa v41, v41, v27 dst_sel:DWORD dst_unused:UNUSED_PAD src0_sel:DWORD src1_sel:WORD_1
	v_fma_f16 v41, v48, v27, v41
	s_mov_b32 s10, 0x9000
	s_waitcnt lgkmcnt(0)
	v_lshrrev_b32_e32 v48, 16, v46
	v_mul_f16_sdwa v49, v46, v32 dst_sel:DWORD dst_unused:UNUSED_PAD src0_sel:DWORD src1_sel:WORD_1
	v_fma_f16 v58, v48, v32, v49
	v_mul_f16_sdwa v48, v48, v32 dst_sel:DWORD dst_unused:UNUSED_PAD src0_sel:DWORD src1_sel:WORD_1
	v_fma_f16 v46, v46, v32, -v48
	ds_read2st64_b32 v[48:49], v1 offset1:8
	v_lshrrev_b32_e32 v59, 16, v47
	v_mul_f16_sdwa v60, v59, v28 dst_sel:DWORD dst_unused:UNUSED_PAD src0_sel:DWORD src1_sel:WORD_1
	v_fma_f16 v60, v47, v28, -v60
	v_mul_f16_sdwa v47, v47, v28 dst_sel:DWORD dst_unused:UNUSED_PAD src0_sel:DWORD src1_sel:WORD_1
	v_fma_f16 v47, v59, v28, v47
	s_waitcnt lgkmcnt(0)
	v_lshrrev_b32_e32 v59, 16, v48
	v_sub_f16_e32 v54, v48, v54
	v_sub_f16_e32 v52, v59, v52
	;; [unrolled: 1-line block ×4, first 2 shown]
	v_fma_f16 v48, v48, 2.0, -v54
	v_fma_f16 v59, v59, 2.0, -v52
	;; [unrolled: 1-line block ×4, first 2 shown]
	v_lshrrev_b32_e32 v94, 16, v49
	v_sub_f16_e32 v50, v48, v50
	v_sub_f16_e32 v45, v59, v45
	;; [unrolled: 1-line block ×3, first 2 shown]
	v_fma_f16 v48, v48, 2.0, -v50
	v_fma_f16 v59, v59, 2.0, -v45
	v_sub_f16_e32 v41, v94, v41
	v_sub_f16_e32 v60, v51, v60
	v_sub_f16_e32 v47, v55, v47
	v_fma_f16 v49, v49, 2.0, -v56
	v_pack_b32_f16 v48, v48, v59
	v_fma_f16 v59, v94, 2.0, -v41
	v_fma_f16 v51, v51, 2.0, -v60
	;; [unrolled: 1-line block ×3, first 2 shown]
	v_sub_f16_e32 v51, v49, v51
	v_sub_f16_e32 v55, v59, v55
	v_fma_f16 v49, v49, 2.0, -v51
	v_fma_f16 v59, v59, 2.0, -v55
	v_pack_b32_f16 v49, v49, v59
	v_sub_f16_e32 v58, v54, v58
	v_add_f16_e32 v46, v52, v46
	ds_write2st64_b32 v1, v48, v49 offset1:8
	v_fma_f16 v48, v54, 2.0, -v58
	v_fma_f16 v49, v52, 2.0, -v46
	v_sub_f16_e32 v47, v56, v47
	v_add_f16_e32 v52, v41, v60
	v_pack_b32_f16 v48, v48, v49
	v_fma_f16 v49, v56, 2.0, -v47
	v_fma_f16 v41, v41, 2.0, -v52
	v_pack_b32_f16 v41, v49, v41
	ds_write2st64_b32 v1, v48, v41 offset0:64 offset1:72
	ds_read2st64_b32 v[48:49], v1 offset0:80 offset1:88
	v_pack_b32_f16 v41, v50, v45
	v_pack_b32_f16 v45, v51, v55
	ds_write2st64_b32 v1, v41, v45 offset0:128 offset1:136
	v_pack_b32_f16 v41, v58, v46
	v_add_co_u32_e32 v46, vcc, s10, v29
	v_pack_b32_f16 v45, v47, v52
	s_nop 0
	v_addc_co_u32_e32 v47, vcc, 0, v33, vcc
	s_mov_b32 s10, 0xb000
	ds_write2st64_b32 v1, v41, v45 offset0:192 offset1:200
	s_waitcnt lgkmcnt(2)
	v_lshrrev_b32_e32 v41, 16, v48
	s_waitcnt vmcnt(1)
	v_mul_f16_sdwa v45, v48, v42 dst_sel:DWORD dst_unused:UNUSED_PAD src0_sel:DWORD src1_sel:WORD_1
	global_load_dwordx3 v[50:52], v[46:47], off offset:4064
	v_add_co_u32_e32 v46, vcc, s10, v29
	v_fma_f16 v45, v41, v42, v45
	v_mul_f16_sdwa v41, v41, v42 dst_sel:DWORD dst_unused:UNUSED_PAD src0_sel:DWORD src1_sel:WORD_1
	v_addc_co_u32_e32 v47, vcc, 0, v33, vcc
	v_fma_f16 v41, v48, v42, -v41
	global_load_dwordx3 v[46:48], v[46:47], off offset:2016
	ds_read2st64_b32 v[54:55], v1 offset0:144 offset1:152
	v_lshrrev_b32_e32 v56, 16, v49
	s_waitcnt vmcnt(2)
	v_mul_f16_sdwa v58, v56, v38 dst_sel:DWORD dst_unused:UNUSED_PAD src0_sel:DWORD src1_sel:WORD_1
	v_fma_f16 v60, v49, v38, -v58
	v_mul_f16_sdwa v49, v49, v38 dst_sel:DWORD dst_unused:UNUSED_PAD src0_sel:DWORD src1_sel:WORD_1
	v_fma_f16 v49, v56, v38, v49
	s_waitcnt lgkmcnt(0)
	v_lshrrev_b32_e32 v56, 16, v54
	v_mul_f16_sdwa v58, v54, v43 dst_sel:DWORD dst_unused:UNUSED_PAD src0_sel:DWORD src1_sel:WORD_1
	v_fma_f16 v94, v56, v43, v58
	ds_read2st64_b32 v[58:59], v1 offset0:208 offset1:216
	v_mul_f16_sdwa v56, v56, v43 dst_sel:DWORD dst_unused:UNUSED_PAD src0_sel:DWORD src1_sel:WORD_1
	v_fma_f16 v56, v54, v43, -v56
	v_lshrrev_b32_e32 v54, 16, v55
	v_mul_f16_sdwa v95, v54, v39 dst_sel:DWORD dst_unused:UNUSED_PAD src0_sel:DWORD src1_sel:WORD_1
	v_fma_f16 v95, v55, v39, -v95
	v_mul_f16_sdwa v55, v55, v39 dst_sel:DWORD dst_unused:UNUSED_PAD src0_sel:DWORD src1_sel:WORD_1
	v_fma_f16 v136, v54, v39, v55
	s_waitcnt lgkmcnt(0)
	v_lshrrev_b32_e32 v54, 16, v58
	v_mul_f16_sdwa v55, v58, v44 dst_sel:DWORD dst_unused:UNUSED_PAD src0_sel:DWORD src1_sel:WORD_1
	v_fma_f16 v137, v54, v44, v55
	v_mul_f16_sdwa v54, v54, v44 dst_sel:DWORD dst_unused:UNUSED_PAD src0_sel:DWORD src1_sel:WORD_1
	v_fma_f16 v58, v58, v44, -v54
	ds_read2st64_b32 v[54:55], v1 offset0:16 offset1:24
	v_lshrrev_b32_e32 v138, 16, v59
	v_mul_f16_sdwa v139, v138, v40 dst_sel:DWORD dst_unused:UNUSED_PAD src0_sel:DWORD src1_sel:WORD_1
	v_fma_f16 v139, v59, v40, -v139
	v_mul_f16_sdwa v59, v59, v40 dst_sel:DWORD dst_unused:UNUSED_PAD src0_sel:DWORD src1_sel:WORD_1
	v_fma_f16 v59, v138, v40, v59
	s_waitcnt lgkmcnt(0)
	v_lshrrev_b32_e32 v138, 16, v54
	v_sub_f16_e32 v56, v54, v56
	v_sub_f16_e32 v94, v138, v94
	;; [unrolled: 1-line block ×4, first 2 shown]
	v_fma_f16 v54, v54, 2.0, -v56
	v_fma_f16 v138, v138, 2.0, -v94
	;; [unrolled: 1-line block ×4, first 2 shown]
	v_lshrrev_b32_e32 v140, 16, v55
	v_sub_f16_e32 v41, v54, v41
	v_sub_f16_e32 v45, v138, v45
	;; [unrolled: 1-line block ×3, first 2 shown]
	v_fma_f16 v54, v54, 2.0, -v41
	v_fma_f16 v138, v138, 2.0, -v45
	v_sub_f16_e32 v136, v140, v136
	v_sub_f16_e32 v139, v60, v139
	;; [unrolled: 1-line block ×3, first 2 shown]
	v_fma_f16 v55, v55, 2.0, -v95
	v_pack_b32_f16 v54, v54, v138
	v_fma_f16 v138, v140, 2.0, -v136
	v_fma_f16 v60, v60, 2.0, -v139
	v_fma_f16 v49, v49, 2.0, -v59
	v_sub_f16_e32 v60, v55, v60
	v_sub_f16_e32 v49, v138, v49
	v_fma_f16 v55, v55, 2.0, -v60
	v_fma_f16 v138, v138, 2.0, -v49
	v_pack_b32_f16 v55, v55, v138
	ds_write2st64_b32 v1, v54, v55 offset0:16 offset1:24
	v_sub_f16_e32 v54, v56, v137
	v_add_f16_e32 v55, v94, v58
	v_pack_b32_f16 v41, v41, v45
	v_pack_b32_f16 v45, v60, v49
	s_mov_b32 s10, 0xc000
	v_fma_f16 v56, v56, 2.0, -v54
	v_fma_f16 v58, v94, 2.0, -v55
	ds_write2st64_b32 v1, v41, v45 offset0:144 offset1:152
	v_pack_b32_f16 v41, v54, v55
	v_add_co_u32_e32 v54, vcc, s10, v29
	v_pack_b32_f16 v56, v56, v58
	v_sub_f16_e32 v58, v95, v59
	v_add_f16_e32 v59, v136, v139
	v_addc_co_u32_e32 v55, vcc, 0, v33, vcc
	s_mov_b32 s10, 0xe000
	v_fma_f16 v94, v95, 2.0, -v58
	v_fma_f16 v95, v136, 2.0, -v59
	v_pack_b32_f16 v45, v58, v59
	global_load_dwordx3 v[58:60], v[54:55], off offset:4064
	v_add_co_u32_e32 v54, vcc, s10, v29
	v_pack_b32_f16 v94, v94, v95
	s_nop 0
	v_addc_co_u32_e32 v55, vcc, 0, v33, vcc
	ds_write2st64_b32 v1, v56, v94 offset0:80 offset1:88
	global_load_dwordx3 v[54:56], v[54:55], off offset:2016
	ds_read2st64_b32 v[94:95], v1 offset0:96 offset1:104
	ds_read2st64_b32 v[136:137], v1 offset0:160 offset1:168
	ds_write2st64_b32 v1, v41, v45 offset0:208 offset1:216
	s_waitcnt lgkmcnt(2)
	v_lshrrev_b32_e32 v41, 16, v94
	s_waitcnt vmcnt(3)
	v_mul_f16_sdwa v45, v94, v50 dst_sel:DWORD dst_unused:UNUSED_PAD src0_sel:DWORD src1_sel:WORD_1
	v_fma_f16 v45, v41, v50, v45
	v_mul_f16_sdwa v41, v41, v50 dst_sel:DWORD dst_unused:UNUSED_PAD src0_sel:DWORD src1_sel:WORD_1
	v_lshrrev_b32_e32 v49, 16, v95
	v_fma_f16 v41, v94, v50, -v41
	s_waitcnt vmcnt(2)
	v_mul_f16_sdwa v94, v49, v46 dst_sel:DWORD dst_unused:UNUSED_PAD src0_sel:DWORD src1_sel:WORD_1
	v_mul_f16_sdwa v33, v95, v46 dst_sel:DWORD dst_unused:UNUSED_PAD src0_sel:DWORD src1_sel:WORD_1
	v_fma_f16 v29, v95, v46, -v94
	v_fma_f16 v33, v49, v46, v33
	s_waitcnt lgkmcnt(1)
	v_lshrrev_b32_e32 v49, 16, v136
	v_mul_f16_sdwa v94, v136, v51 dst_sel:DWORD dst_unused:UNUSED_PAD src0_sel:DWORD src1_sel:WORD_1
	v_fma_f16 v138, v49, v51, v94
	ds_read2st64_b32 v[94:95], v1 offset0:224 offset1:232
	v_mul_f16_sdwa v49, v49, v51 dst_sel:DWORD dst_unused:UNUSED_PAD src0_sel:DWORD src1_sel:WORD_1
	v_fma_f16 v49, v136, v51, -v49
	v_lshrrev_b32_e32 v136, 16, v137
	v_mul_f16_sdwa v139, v136, v47 dst_sel:DWORD dst_unused:UNUSED_PAD src0_sel:DWORD src1_sel:WORD_1
	v_fma_f16 v139, v137, v47, -v139
	v_mul_f16_sdwa v137, v137, v47 dst_sel:DWORD dst_unused:UNUSED_PAD src0_sel:DWORD src1_sel:WORD_1
	v_fma_f16 v140, v136, v47, v137
	s_waitcnt lgkmcnt(0)
	v_lshrrev_b32_e32 v136, 16, v94
	v_mul_f16_sdwa v137, v94, v52 dst_sel:DWORD dst_unused:UNUSED_PAD src0_sel:DWORD src1_sel:WORD_1
	v_fma_f16 v141, v136, v52, v137
	v_mul_f16_sdwa v136, v136, v52 dst_sel:DWORD dst_unused:UNUSED_PAD src0_sel:DWORD src1_sel:WORD_1
	v_fma_f16 v94, v94, v52, -v136
	ds_read2st64_b32 v[136:137], v1 offset0:32 offset1:40
	v_lshrrev_b32_e32 v142, 16, v95
	v_mul_f16_sdwa v143, v142, v48 dst_sel:DWORD dst_unused:UNUSED_PAD src0_sel:DWORD src1_sel:WORD_1
	v_fma_f16 v143, v95, v48, -v143
	v_mul_f16_sdwa v95, v95, v48 dst_sel:DWORD dst_unused:UNUSED_PAD src0_sel:DWORD src1_sel:WORD_1
	v_fma_f16 v95, v142, v48, v95
	s_waitcnt lgkmcnt(0)
	v_lshrrev_b32_e32 v142, 16, v136
	v_sub_f16_e32 v49, v136, v49
	v_sub_f16_e32 v138, v142, v138
	;; [unrolled: 1-line block ×4, first 2 shown]
	v_fma_f16 v136, v136, 2.0, -v49
	v_fma_f16 v142, v142, 2.0, -v138
	;; [unrolled: 1-line block ×4, first 2 shown]
	v_lshrrev_b32_e32 v144, 16, v137
	v_sub_f16_e32 v41, v136, v41
	v_sub_f16_e32 v45, v142, v45
	;; [unrolled: 1-line block ×3, first 2 shown]
	v_fma_f16 v136, v136, 2.0, -v41
	v_fma_f16 v142, v142, 2.0, -v45
	v_sub_f16_e32 v140, v144, v140
	v_sub_f16_e32 v143, v29, v143
	;; [unrolled: 1-line block ×3, first 2 shown]
	v_fma_f16 v137, v137, 2.0, -v139
	v_pack_b32_f16 v136, v136, v142
	v_fma_f16 v142, v144, 2.0, -v140
	v_fma_f16 v29, v29, 2.0, -v143
	;; [unrolled: 1-line block ×3, first 2 shown]
	v_sub_f16_e32 v29, v137, v29
	v_sub_f16_e32 v33, v142, v33
	v_fma_f16 v137, v137, 2.0, -v29
	v_fma_f16 v142, v142, 2.0, -v33
	v_pack_b32_f16 v137, v137, v142
	ds_write2st64_b32 v1, v136, v137 offset0:32 offset1:40
	v_sub_f16_e32 v136, v49, v141
	v_add_f16_e32 v137, v138, v94
	v_fma_f16 v49, v49, 2.0, -v136
	v_fma_f16 v94, v138, 2.0, -v137
	v_sub_f16_e32 v138, v139, v95
	v_add_f16_e32 v141, v140, v143
	v_pack_b32_f16 v49, v49, v94
	v_fma_f16 v94, v139, 2.0, -v138
	v_fma_f16 v95, v140, 2.0, -v141
	v_pack_b32_f16 v94, v94, v95
	ds_write2st64_b32 v1, v49, v94 offset0:96 offset1:104
	ds_read2st64_b32 v[94:95], v1 offset0:112 offset1:120
	v_pack_b32_f16 v41, v41, v45
	v_pack_b32_f16 v29, v29, v33
	ds_write2st64_b32 v1, v41, v29 offset0:160 offset1:168
	v_pack_b32_f16 v29, v136, v137
	ds_read2st64_b32 v[136:137], v1 offset0:176 offset1:184
	v_pack_b32_f16 v33, v138, v141
	ds_write2st64_b32 v1, v29, v33 offset0:224 offset1:232
	s_waitcnt lgkmcnt(3)
	v_lshrrev_b32_e32 v29, 16, v94
	s_waitcnt vmcnt(1)
	v_mul_f16_sdwa v33, v94, v58 dst_sel:DWORD dst_unused:UNUSED_PAD src0_sel:DWORD src1_sel:WORD_1
	v_fma_f16 v33, v29, v58, v33
	v_mul_f16_sdwa v29, v29, v58 dst_sel:DWORD dst_unused:UNUSED_PAD src0_sel:DWORD src1_sel:WORD_1
	v_lshrrev_b32_e32 v41, 16, v95
	s_waitcnt vmcnt(0)
	v_mul_f16_sdwa v49, v95, v54 dst_sel:DWORD dst_unused:UNUSED_PAD src0_sel:DWORD src1_sel:WORD_1
	v_fma_f16 v29, v94, v58, -v29
	v_mul_f16_sdwa v45, v41, v54 dst_sel:DWORD dst_unused:UNUSED_PAD src0_sel:DWORD src1_sel:WORD_1
	v_fma_f16 v41, v41, v54, v49
	s_waitcnt lgkmcnt(1)
	v_lshrrev_b32_e32 v49, 16, v136
	v_mul_f16_sdwa v94, v136, v59 dst_sel:DWORD dst_unused:UNUSED_PAD src0_sel:DWORD src1_sel:WORD_1
	v_fma_f16 v45, v95, v54, -v45
	v_fma_f16 v138, v49, v59, v94
	ds_read2st64_b32 v[94:95], v1 offset0:240 offset1:248
	v_mul_f16_sdwa v49, v49, v59 dst_sel:DWORD dst_unused:UNUSED_PAD src0_sel:DWORD src1_sel:WORD_1
	v_fma_f16 v49, v136, v59, -v49
	v_lshrrev_b32_e32 v136, 16, v137
	v_mul_f16_sdwa v139, v136, v55 dst_sel:DWORD dst_unused:UNUSED_PAD src0_sel:DWORD src1_sel:WORD_1
	v_fma_f16 v139, v137, v55, -v139
	v_mul_f16_sdwa v137, v137, v55 dst_sel:DWORD dst_unused:UNUSED_PAD src0_sel:DWORD src1_sel:WORD_1
	v_fma_f16 v140, v136, v55, v137
	s_waitcnt lgkmcnt(0)
	v_lshrrev_b32_e32 v136, 16, v94
	v_mul_f16_sdwa v137, v94, v60 dst_sel:DWORD dst_unused:UNUSED_PAD src0_sel:DWORD src1_sel:WORD_1
	v_fma_f16 v141, v136, v60, v137
	v_mul_f16_sdwa v136, v136, v60 dst_sel:DWORD dst_unused:UNUSED_PAD src0_sel:DWORD src1_sel:WORD_1
	v_fma_f16 v94, v94, v60, -v136
	ds_read2st64_b32 v[136:137], v1 offset0:48 offset1:56
	v_lshrrev_b32_e32 v142, 16, v95
	v_mul_f16_sdwa v143, v142, v56 dst_sel:DWORD dst_unused:UNUSED_PAD src0_sel:DWORD src1_sel:WORD_1
	v_fma_f16 v143, v95, v56, -v143
	v_mul_f16_sdwa v95, v95, v56 dst_sel:DWORD dst_unused:UNUSED_PAD src0_sel:DWORD src1_sel:WORD_1
	v_fma_f16 v95, v142, v56, v95
	s_waitcnt lgkmcnt(0)
	v_lshrrev_b32_e32 v142, 16, v136
	v_sub_f16_e32 v49, v136, v49
	v_sub_f16_e32 v138, v142, v138
	;; [unrolled: 1-line block ×4, first 2 shown]
	v_fma_f16 v136, v136, 2.0, -v49
	v_fma_f16 v142, v142, 2.0, -v138
	;; [unrolled: 1-line block ×4, first 2 shown]
	v_lshrrev_b32_e32 v144, 16, v137
	v_sub_f16_e32 v29, v136, v29
	v_sub_f16_e32 v33, v142, v33
	;; [unrolled: 1-line block ×3, first 2 shown]
	v_fma_f16 v136, v136, 2.0, -v29
	v_fma_f16 v142, v142, 2.0, -v33
	v_sub_f16_e32 v140, v144, v140
	v_sub_f16_e32 v143, v45, v143
	;; [unrolled: 1-line block ×3, first 2 shown]
	v_fma_f16 v137, v137, 2.0, -v139
	v_pack_b32_f16 v136, v136, v142
	v_fma_f16 v142, v144, 2.0, -v140
	v_fma_f16 v45, v45, 2.0, -v143
	;; [unrolled: 1-line block ×3, first 2 shown]
	v_sub_f16_e32 v45, v137, v45
	v_sub_f16_e32 v41, v142, v41
	v_fma_f16 v137, v137, 2.0, -v45
	v_fma_f16 v142, v142, 2.0, -v41
	v_pack_b32_f16 v137, v137, v142
	ds_write2st64_b32 v1, v136, v137 offset0:48 offset1:56
	v_sub_f16_e32 v136, v49, v141
	v_add_f16_e32 v94, v138, v94
	v_fma_f16 v49, v49, 2.0, -v136
	v_fma_f16 v137, v138, 2.0, -v94
	v_pack_b32_f16 v49, v49, v137
	v_sub_f16_e32 v95, v139, v95
	v_add_f16_e32 v137, v140, v143
	v_fma_f16 v138, v139, 2.0, -v95
	v_fma_f16 v139, v140, 2.0, -v137
	v_pack_b32_f16 v29, v29, v33
	v_pack_b32_f16 v33, v45, v41
	v_pack_b32_f16 v138, v138, v139
	ds_write2st64_b32 v1, v29, v33 offset0:176 offset1:184
	v_pack_b32_f16 v29, v136, v94
	v_pack_b32_f16 v33, v95, v137
	ds_write2st64_b32 v1, v49, v138 offset0:112 offset1:120
	ds_write2st64_b32 v1, v29, v33 offset0:240 offset1:248
	s_waitcnt lgkmcnt(0)
	s_barrier
	global_load_dword v29, v1, s[2:3]
	global_load_dword v33, v1, s[2:3] offset:2048
	global_load_dword v41, v76, s[2:3]
	global_load_dword v45, v77, s[2:3]
	;; [unrolled: 1-line block ×3, first 2 shown]
	s_nop 0
	global_load_dword v76, v82, s[2:3]
	global_load_dword v77, v72, s[2:3]
	;; [unrolled: 1-line block ×3, first 2 shown]
	s_nop 0
	global_load_dword v82, v73, s[2:3]
	global_load_dword v85, v86, s[2:3]
	s_nop 0
	global_load_dword v86, v87, s[2:3]
	s_nop 0
	global_load_dword v87, v88, s[2:3]
	ds_read2st64_b32 v[72:73], v1 offset1:8
	s_waitcnt lgkmcnt(0)
	v_lshrrev_b32_e32 v88, 16, v72
	s_waitcnt vmcnt(11)
	v_mul_f16_sdwa v94, v72, v29 dst_sel:DWORD dst_unused:UNUSED_PAD src0_sel:DWORD src1_sel:WORD_1
	v_fma_f16 v94, v88, v29, v94
	v_mul_f16_sdwa v88, v88, v29 dst_sel:DWORD dst_unused:UNUSED_PAD src0_sel:DWORD src1_sel:WORD_1
	v_fma_f16 v29, v72, v29, -v88
	global_load_dword v88, v91, s[2:3]
	v_lshrrev_b32_e32 v91, 16, v73
	s_waitcnt vmcnt(11)
	v_mul_f16_sdwa v72, v91, v33 dst_sel:DWORD dst_unused:UNUSED_PAD src0_sel:DWORD src1_sel:WORD_1
	v_mul_f16_sdwa v136, v73, v33 dst_sel:DWORD dst_unused:UNUSED_PAD src0_sel:DWORD src1_sel:WORD_1
	v_fma_f16 v95, v73, v33, -v72
	v_fma_f16 v33, v91, v33, v136
	v_pack_b32_f16 v29, v29, v94
	v_pack_b32_f16 v33, v95, v33
	ds_write2st64_b32 v1, v29, v33 offset1:8
	ds_read2st64_b32 v[72:73], v1 offset0:32 offset1:40
	global_load_dword v91, v92, s[2:3]
	s_nop 0
	global_load_dword v92, v93, s[2:3]
	s_waitcnt lgkmcnt(0)
	v_lshrrev_b32_e32 v29, 16, v72
	global_load_dword v64, v64, s[2:3]
	s_waitcnt vmcnt(9)
	v_mul_f16_sdwa v33, v72, v77 dst_sel:DWORD dst_unused:UNUSED_PAD src0_sel:DWORD src1_sel:WORD_1
	v_fma_f16 v33, v29, v77, v33
	v_mul_f16_sdwa v29, v29, v77 dst_sel:DWORD dst_unused:UNUSED_PAD src0_sel:DWORD src1_sel:WORD_1
	v_fma_f16 v29, v72, v77, -v29
	v_lshrrev_b32_e32 v77, 16, v73
	s_waitcnt vmcnt(8)
	v_mul_f16_sdwa v72, v77, v79 dst_sel:DWORD dst_unused:UNUSED_PAD src0_sel:DWORD src1_sel:WORD_1
	v_fma_f16 v93, v73, v79, -v72
	v_mul_f16_sdwa v94, v73, v79 dst_sel:DWORD dst_unused:UNUSED_PAD src0_sel:DWORD src1_sel:WORD_1
	ds_read2st64_b32 v[72:73], v1 offset0:64 offset1:72
	v_fma_f16 v77, v77, v79, v94
	v_pack_b32_f16 v29, v29, v33
	v_pack_b32_f16 v33, v93, v77
	ds_write2st64_b32 v1, v29, v33 offset0:32 offset1:40
	s_waitcnt lgkmcnt(1)
	v_lshrrev_b32_e32 v29, 16, v72
	s_waitcnt vmcnt(7)
	v_mul_f16_sdwa v33, v72, v82 dst_sel:DWORD dst_unused:UNUSED_PAD src0_sel:DWORD src1_sel:WORD_1
	v_fma_f16 v33, v29, v82, v33
	v_mul_f16_sdwa v29, v29, v82 dst_sel:DWORD dst_unused:UNUSED_PAD src0_sel:DWORD src1_sel:WORD_1
	v_lshrrev_b32_e32 v77, 16, v73
	v_fma_f16 v29, v72, v82, -v29
	s_waitcnt vmcnt(6)
	v_mul_f16_sdwa v72, v77, v85 dst_sel:DWORD dst_unused:UNUSED_PAD src0_sel:DWORD src1_sel:WORD_1
	v_fma_f16 v79, v73, v85, -v72
	v_mul_f16_sdwa v82, v73, v85 dst_sel:DWORD dst_unused:UNUSED_PAD src0_sel:DWORD src1_sel:WORD_1
	ds_read2st64_b32 v[72:73], v1 offset0:96 offset1:104
	global_load_dword v75, v75, s[2:3]
	v_fma_f16 v77, v77, v85, v82
	v_pack_b32_f16 v29, v29, v33
	v_pack_b32_f16 v33, v79, v77
	ds_write2st64_b32 v1, v29, v33 offset0:64 offset1:72
	s_waitcnt lgkmcnt(1)
	v_lshrrev_b32_e32 v29, 16, v72
	v_mul_f16_sdwa v33, v72, v41 dst_sel:DWORD dst_unused:UNUSED_PAD src0_sel:DWORD src1_sel:WORD_1
	global_load_dword v78, v78, s[2:3]
	v_fma_f16 v33, v29, v41, v33
	v_mul_f16_sdwa v29, v29, v41 dst_sel:DWORD dst_unused:UNUSED_PAD src0_sel:DWORD src1_sel:WORD_1
	v_fma_f16 v29, v72, v41, -v29
	v_lshrrev_b32_e32 v41, 16, v73
	s_waitcnt vmcnt(7)
	v_mul_f16_sdwa v72, v41, v86 dst_sel:DWORD dst_unused:UNUSED_PAD src0_sel:DWORD src1_sel:WORD_1
	v_mul_f16_sdwa v79, v73, v86 dst_sel:DWORD dst_unused:UNUSED_PAD src0_sel:DWORD src1_sel:WORD_1
	v_fma_f16 v77, v73, v86, -v72
	v_fma_f16 v41, v41, v86, v79
	v_pack_b32_f16 v29, v29, v33
	v_pack_b32_f16 v33, v77, v41
	global_load_dword v41, v80, s[2:3]
	ds_read2st64_b32 v[72:73], v1 offset0:128 offset1:136
	ds_write2st64_b32 v1, v29, v33 offset0:96 offset1:104
	s_waitcnt lgkmcnt(1)
	v_lshrrev_b32_e32 v29, 16, v72
	v_mul_f16_sdwa v33, v72, v45 dst_sel:DWORD dst_unused:UNUSED_PAD src0_sel:DWORD src1_sel:WORD_1
	v_fma_f16 v33, v29, v45, v33
	v_mul_f16_sdwa v29, v29, v45 dst_sel:DWORD dst_unused:UNUSED_PAD src0_sel:DWORD src1_sel:WORD_1
	v_fma_f16 v29, v72, v45, -v29
	v_lshrrev_b32_e32 v45, 16, v73
	s_waitcnt vmcnt(7)
	v_mul_f16_sdwa v72, v45, v87 dst_sel:DWORD dst_unused:UNUSED_PAD src0_sel:DWORD src1_sel:WORD_1
	v_fma_f16 v77, v73, v87, -v72
	v_mul_f16_sdwa v79, v73, v87 dst_sel:DWORD dst_unused:UNUSED_PAD src0_sel:DWORD src1_sel:WORD_1
	ds_read2st64_b32 v[72:73], v1 offset0:160 offset1:168
	v_fma_f16 v45, v45, v87, v79
	v_pack_b32_f16 v29, v29, v33
	v_pack_b32_f16 v33, v77, v45
	ds_write2st64_b32 v1, v29, v33 offset0:128 offset1:136
	s_waitcnt lgkmcnt(1)
	v_lshrrev_b32_e32 v29, 16, v72
	v_mul_f16_sdwa v45, v72, v49 dst_sel:DWORD dst_unused:UNUSED_PAD src0_sel:DWORD src1_sel:WORD_1
	v_fma_f16 v45, v29, v49, v45
	v_mul_f16_sdwa v29, v29, v49 dst_sel:DWORD dst_unused:UNUSED_PAD src0_sel:DWORD src1_sel:WORD_1
	v_fma_f16 v29, v72, v49, -v29
	v_lshrrev_b32_e32 v49, 16, v73
	s_waitcnt vmcnt(6)
	v_mul_f16_sdwa v72, v49, v88 dst_sel:DWORD dst_unused:UNUSED_PAD src0_sel:DWORD src1_sel:WORD_1
	v_fma_f16 v77, v73, v88, -v72
	v_mul_f16_sdwa v72, v73, v88 dst_sel:DWORD dst_unused:UNUSED_PAD src0_sel:DWORD src1_sel:WORD_1
	v_fma_f16 v49, v49, v88, v72
	ds_read2st64_b32 v[72:73], v1 offset0:192 offset1:200
	v_pack_b32_f16 v29, v29, v45
	v_pack_b32_f16 v45, v77, v49
	ds_write2st64_b32 v1, v29, v45 offset0:160 offset1:168
	global_load_dword v33, v81, s[2:3]
	global_load_dword v49, v89, s[2:3]
	s_waitcnt lgkmcnt(1)
	v_lshrrev_b32_e32 v29, 16, v72
	v_mul_f16_sdwa v45, v72, v76 dst_sel:DWORD dst_unused:UNUSED_PAD src0_sel:DWORD src1_sel:WORD_1
	v_fma_f16 v45, v29, v76, v45
	v_mul_f16_sdwa v29, v29, v76 dst_sel:DWORD dst_unused:UNUSED_PAD src0_sel:DWORD src1_sel:WORD_1
	v_fma_f16 v29, v72, v76, -v29
	ds_read2st64_b32 v[76:77], v1 offset0:224 offset1:232
	global_load_dword v79, v83, s[2:3]
	global_load_dword v81, v84, s[2:3]
	v_pack_b32_f16 v29, v29, v45
	global_load_dword v83, v67, s[2:3]
	global_load_dword v84, v66, s[2:3]
	s_waitcnt lgkmcnt(0)
	v_lshrrev_b32_e32 v45, 16, v76
	s_waitcnt vmcnt(9)
	v_mul_f16_sdwa v67, v76, v64 dst_sel:DWORD dst_unused:UNUSED_PAD src0_sel:DWORD src1_sel:WORD_1
	v_fma_f16 v67, v45, v64, v67
	v_mul_f16_sdwa v45, v45, v64 dst_sel:DWORD dst_unused:UNUSED_PAD src0_sel:DWORD src1_sel:WORD_1
	v_fma_f16 v45, v76, v64, -v45
	global_load_dword v76, v74, s[2:3]
	global_load_dword v80, v90, s[2:3]
	v_lshrrev_b32_e32 v72, 16, v73
	v_mul_f16_sdwa v82, v72, v91 dst_sel:DWORD dst_unused:UNUSED_PAD src0_sel:DWORD src1_sel:WORD_1
	v_fma_f16 v82, v73, v91, -v82
	v_mul_f16_sdwa v73, v73, v91 dst_sel:DWORD dst_unused:UNUSED_PAD src0_sel:DWORD src1_sel:WORD_1
	v_fma_f16 v72, v72, v91, v73
	v_pack_b32_f16 v64, v82, v72
	ds_write2st64_b32 v1, v29, v64 offset0:192 offset1:200
	v_lshrrev_b32_e32 v29, 16, v77
	v_mul_f16_sdwa v64, v29, v92 dst_sel:DWORD dst_unused:UNUSED_PAD src0_sel:DWORD src1_sel:WORD_1
	global_load_dword v82, v65, s[2:3]
	v_pack_b32_f16 v45, v45, v67
	v_fma_f16 v67, v77, v92, -v64
	v_mul_f16_sdwa v72, v77, v92 dst_sel:DWORD dst_unused:UNUSED_PAD src0_sel:DWORD src1_sel:WORD_1
	global_load_dword v77, v70, s[2:3]
	ds_read2st64_b32 v[64:65], v1 offset0:16 offset1:24
	v_fma_f16 v29, v29, v92, v72
	v_pack_b32_f16 v29, v67, v29
	ds_read2st64_b32 v[72:73], v1 offset0:48 offset1:56
	ds_write2st64_b32 v1, v45, v29 offset0:224 offset1:232
	s_waitcnt lgkmcnt(2)
	v_lshrrev_b32_e32 v29, 16, v64
	s_waitcnt vmcnt(12)
	v_mul_f16_sdwa v45, v29, v75 dst_sel:DWORD dst_unused:UNUSED_PAD src0_sel:DWORD src1_sel:WORD_1
	v_fma_f16 v45, v64, v75, -v45
	v_mul_f16_sdwa v64, v64, v75 dst_sel:DWORD dst_unused:UNUSED_PAD src0_sel:DWORD src1_sel:WORD_1
	v_fma_f16 v29, v29, v75, v64
	v_pack_b32_f16 v29, v45, v29
	s_waitcnt lgkmcnt(1)
	v_lshrrev_b32_e32 v45, 16, v72
	s_waitcnt vmcnt(11)
	v_mul_f16_sdwa v64, v72, v78 dst_sel:DWORD dst_unused:UNUSED_PAD src0_sel:DWORD src1_sel:WORD_1
	ds_read2st64_b32 v[66:67], v1 offset0:80 offset1:88
	v_fma_f16 v64, v45, v78, v64
	v_mul_f16_sdwa v45, v45, v78 dst_sel:DWORD dst_unused:UNUSED_PAD src0_sel:DWORD src1_sel:WORD_1
	v_fma_f16 v45, v72, v78, -v45
	global_load_dword v78, v68, s[2:3]
	v_pack_b32_f16 v45, v45, v64
	s_waitcnt lgkmcnt(0)
	v_lshrrev_b32_e32 v64, 16, v66
	s_waitcnt vmcnt(11)
	v_mul_f16_sdwa v68, v66, v41 dst_sel:DWORD dst_unused:UNUSED_PAD src0_sel:DWORD src1_sel:WORD_1
	v_fma_f16 v70, v64, v41, v68
	v_mul_f16_sdwa v64, v64, v41 dst_sel:DWORD dst_unused:UNUSED_PAD src0_sel:DWORD src1_sel:WORD_1
	v_fma_f16 v41, v66, v41, -v64
	global_load_dword v66, v69, s[2:3]
	global_load_dword v85, v71, s[2:3]
	ds_read2st64_b32 v[68:69], v1 offset0:112 offset1:120
	v_lshrrev_b32_e32 v64, 16, v65
	v_pack_b32_f16 v41, v41, v70
	s_movk_i32 s2, 0x400
	s_mul_i32 s3, s5, 0xffff2800
	s_sub_i32 s3, s3, s4
	s_waitcnt vmcnt(5)
	v_mul_f16_sdwa v71, v64, v80 dst_sel:DWORD dst_unused:UNUSED_PAD src0_sel:DWORD src1_sel:WORD_1
	v_fma_f16 v71, v65, v80, -v71
	v_mul_f16_sdwa v65, v65, v80 dst_sel:DWORD dst_unused:UNUSED_PAD src0_sel:DWORD src1_sel:WORD_1
	v_fma_f16 v72, v64, v80, v65
	s_waitcnt lgkmcnt(0)
	v_lshrrev_b32_e32 v64, 16, v68
	v_mul_f16_sdwa v65, v68, v33 dst_sel:DWORD dst_unused:UNUSED_PAD src0_sel:DWORD src1_sel:WORD_1
	v_fma_f16 v70, v64, v33, v65
	v_mul_f16_sdwa v74, v64, v33 dst_sel:DWORD dst_unused:UNUSED_PAD src0_sel:DWORD src1_sel:WORD_1
	ds_read2st64_b32 v[64:65], v1 offset0:144 offset1:152
	v_fma_f16 v33, v68, v33, -v74
	v_pack_b32_f16 v68, v71, v72
	ds_write2st64_b32 v1, v29, v68 offset0:16 offset1:24
	v_pack_b32_f16 v33, v33, v70
	s_waitcnt lgkmcnt(1)
	v_lshrrev_b32_e32 v29, 16, v64
	v_mul_f16_sdwa v68, v64, v79 dst_sel:DWORD dst_unused:UNUSED_PAD src0_sel:DWORD src1_sel:WORD_1
	v_fma_f16 v68, v29, v79, v68
	v_mul_f16_sdwa v29, v29, v79 dst_sel:DWORD dst_unused:UNUSED_PAD src0_sel:DWORD src1_sel:WORD_1
	v_fma_f16 v29, v64, v79, -v29
	v_lshrrev_b32_e32 v64, 16, v73
	ds_read2st64_b32 v[70:71], v1 offset0:176 offset1:184
	v_mul_f16_sdwa v72, v64, v49 dst_sel:DWORD dst_unused:UNUSED_PAD src0_sel:DWORD src1_sel:WORD_1
	v_fma_f16 v74, v73, v49, -v72
	v_mul_f16_sdwa v72, v73, v49 dst_sel:DWORD dst_unused:UNUSED_PAD src0_sel:DWORD src1_sel:WORD_1
	v_fma_f16 v49, v64, v49, v72
	ds_read2st64_b32 v[72:73], v1 offset0:208 offset1:216
	v_pack_b32_f16 v29, v29, v68
	s_waitcnt lgkmcnt(1)
	v_lshrrev_b32_e32 v64, 16, v70
	v_mul_f16_sdwa v68, v70, v81 dst_sel:DWORD dst_unused:UNUSED_PAD src0_sel:DWORD src1_sel:WORD_1
	v_fma_f16 v68, v64, v81, v68
	v_mul_f16_sdwa v64, v64, v81 dst_sel:DWORD dst_unused:UNUSED_PAD src0_sel:DWORD src1_sel:WORD_1
	v_pack_b32_f16 v49, v74, v49
	ds_read2st64_b32 v[74:75], v1 offset0:240 offset1:248
	v_fma_f16 v64, v70, v81, -v64
	v_pack_b32_f16 v64, v64, v68
	ds_write2st64_b32 v1, v45, v49 offset0:48 offset1:56
	s_waitcnt lgkmcnt(2)
	v_lshrrev_b32_e32 v45, 16, v72
	v_mul_f16_sdwa v49, v72, v83 dst_sel:DWORD dst_unused:UNUSED_PAD src0_sel:DWORD src1_sel:WORD_1
	v_lshrrev_b32_e32 v68, 16, v67
	v_fma_f16 v49, v45, v83, v49
	v_mul_f16_sdwa v45, v45, v83 dst_sel:DWORD dst_unused:UNUSED_PAD src0_sel:DWORD src1_sel:WORD_1
	v_mul_f16_sdwa v70, v68, v76 dst_sel:DWORD dst_unused:UNUSED_PAD src0_sel:DWORD src1_sel:WORD_1
	v_fma_f16 v45, v72, v83, -v45
	v_fma_f16 v70, v67, v76, -v70
	v_mul_f16_sdwa v67, v67, v76 dst_sel:DWORD dst_unused:UNUSED_PAD src0_sel:DWORD src1_sel:WORD_1
	v_fma_f16 v67, v68, v76, v67
	v_pack_b32_f16 v45, v45, v49
	s_waitcnt lgkmcnt(1)
	v_lshrrev_b32_e32 v49, 16, v74
	s_waitcnt vmcnt(4)
	v_mul_f16_sdwa v68, v74, v82 dst_sel:DWORD dst_unused:UNUSED_PAD src0_sel:DWORD src1_sel:WORD_1
	v_fma_f16 v68, v49, v82, v68
	v_mul_f16_sdwa v49, v49, v82 dst_sel:DWORD dst_unused:UNUSED_PAD src0_sel:DWORD src1_sel:WORD_1
	v_pack_b32_f16 v67, v70, v67
	v_fma_f16 v49, v74, v82, -v49
	ds_write2st64_b32 v1, v41, v67 offset0:80 offset1:88
	v_lshrrev_b32_e32 v41, 16, v69
	v_pack_b32_f16 v49, v49, v68
	s_waitcnt vmcnt(3)
	v_mul_f16_sdwa v67, v41, v77 dst_sel:DWORD dst_unused:UNUSED_PAD src0_sel:DWORD src1_sel:WORD_1
	v_mul_f16_sdwa v68, v69, v77 dst_sel:DWORD dst_unused:UNUSED_PAD src0_sel:DWORD src1_sel:WORD_1
	v_fma_f16 v67, v69, v77, -v67
	v_fma_f16 v41, v41, v77, v68
	v_pack_b32_f16 v41, v67, v41
	ds_write2st64_b32 v1, v33, v41 offset0:112 offset1:120
	v_lshrrev_b32_e32 v33, 16, v65
	v_mul_f16_sdwa v41, v33, v84 dst_sel:DWORD dst_unused:UNUSED_PAD src0_sel:DWORD src1_sel:WORD_1
	v_fma_f16 v41, v65, v84, -v41
	v_mul_f16_sdwa v65, v65, v84 dst_sel:DWORD dst_unused:UNUSED_PAD src0_sel:DWORD src1_sel:WORD_1
	v_fma_f16 v33, v33, v84, v65
	v_pack_b32_f16 v33, v41, v33
	ds_write2st64_b32 v1, v29, v33 offset0:144 offset1:152
	v_lshrrev_b32_e32 v29, 16, v71
	s_waitcnt vmcnt(2)
	v_mul_f16_sdwa v33, v29, v78 dst_sel:DWORD dst_unused:UNUSED_PAD src0_sel:DWORD src1_sel:WORD_1
	v_mul_f16_sdwa v41, v71, v78 dst_sel:DWORD dst_unused:UNUSED_PAD src0_sel:DWORD src1_sel:WORD_1
	v_fma_f16 v33, v71, v78, -v33
	v_fma_f16 v29, v29, v78, v41
	v_pack_b32_f16 v29, v33, v29
	ds_write2st64_b32 v1, v64, v29 offset0:176 offset1:184
	v_lshrrev_b32_e32 v29, 16, v73
	s_waitcnt vmcnt(1)
	v_mul_f16_sdwa v33, v29, v66 dst_sel:DWORD dst_unused:UNUSED_PAD src0_sel:DWORD src1_sel:WORD_1
	v_mul_f16_sdwa v41, v73, v66 dst_sel:DWORD dst_unused:UNUSED_PAD src0_sel:DWORD src1_sel:WORD_1
	v_fma_f16 v33, v73, v66, -v33
	;; [unrolled: 8-line block ×3, first 2 shown]
	v_fma_f16 v29, v29, v85, v41
	v_pack_b32_f16 v29, v33, v29
	ds_write2st64_b32 v1, v49, v29 offset0:240 offset1:248
	s_waitcnt lgkmcnt(0)
	s_barrier
	ds_read2st64_b32 v[84:85], v1 offset1:8
	ds_read2st64_b32 v[82:83], v1 offset0:32 offset1:40
	ds_read2st64_b32 v[86:87], v1 offset0:64 offset1:72
	;; [unrolled: 1-line block ×7, first 2 shown]
	s_waitcnt lgkmcnt(5)
	v_lshrrev_b32_e32 v41, 16, v87
	s_waitcnt lgkmcnt(4)
	v_lshrrev_b32_e32 v45, 16, v81
	v_lshrrev_b32_e32 v29, 16, v85
	;; [unrolled: 1-line block ×3, first 2 shown]
	s_waitcnt lgkmcnt(1)
	v_sub_f16_sdwa v64, v41, v95 dst_sel:DWORD dst_unused:UNUSED_PAD src0_sel:DWORD src1_sel:WORD_1
	s_waitcnt lgkmcnt(0)
	v_sub_f16_sdwa v66, v45, v91 dst_sel:DWORD dst_unused:UNUSED_PAD src0_sel:DWORD src1_sel:WORD_1
	v_sub_f16_e32 v67, v85, v93
	v_sub_f16_e32 v68, v83, v89
	v_sub_f16_sdwa v49, v29, v93 dst_sel:DWORD dst_unused:UNUSED_PAD src0_sel:DWORD src1_sel:WORD_1
	v_fma_f16 v41, v41, 2.0, -v64
	v_sub_f16_sdwa v65, v33, v89 dst_sel:DWORD dst_unused:UNUSED_PAD src0_sel:DWORD src1_sel:WORD_1
	v_fma_f16 v45, v45, 2.0, -v66
	v_add_f16_e32 v93, v67, v64
	v_sub_f16_e32 v64, v87, v95
	v_add_f16_e32 v66, v68, v66
	v_sub_f16_e32 v69, v81, v91
	v_sub_f16_e32 v95, v49, v64
	;; [unrolled: 1-line block ×3, first 2 shown]
	v_fma_f16 v89, v67, 2.0, -v93
	v_fma_f16 v71, v68, 2.0, -v66
	v_fma_f16 v29, v29, 2.0, -v49
	v_fma_f16 v33, v33, 2.0, -v65
	v_fma_f16 v49, v49, 2.0, -v95
	v_fma_f16 v65, v65, 2.0, -v70
	v_fma_f16 v72, v71, s8, v89
	v_fma_f16 v91, v65, s9, v72
	;; [unrolled: 1-line block ×8, first 2 shown]
	v_fma_f16 v65, v85, 2.0, -v67
	v_fma_f16 v64, v87, 2.0, -v64
	;; [unrolled: 1-line block ×4, first 2 shown]
	v_sub_f16_e32 v85, v65, v64
	v_sub_f16_e32 v41, v29, v41
	;; [unrolled: 1-line block ×4, first 2 shown]
	v_fma_f16 v87, v65, 2.0, -v85
	v_fma_f16 v29, v29, 2.0, -v41
	;; [unrolled: 1-line block ×4, first 2 shown]
	v_sub_f16_e32 v143, v87, v65
	v_sub_f16_e32 v33, v29, v33
	v_add_f16_e32 v45, v85, v45
	v_sub_f16_e32 v144, v41, v64
	v_pack_b32_f16 v139, v141, v142
	v_pack_b32_f16 v138, v45, v144
	;; [unrolled: 1-line block ×4, first 2 shown]
	ds_read2st64_b32 v[74:75], v1 offset0:16 offset1:24
	ds_read2st64_b32 v[66:67], v1 offset0:48 offset1:56
	ds_read2st64_b32 v[70:71], v1 offset0:80 offset1:88
	ds_read2st64_b32 v[64:65], v1 offset0:112 offset1:120
	ds_read2st64_b32 v[78:79], v1 offset0:144 offset1:152
	ds_read2st64_b32 v[72:73], v1 offset0:176 offset1:184
	ds_read2st64_b32 v[76:77], v1 offset0:208 offset1:216
	ds_read2st64_b32 v[68:69], v1 offset0:240 offset1:248
	s_waitcnt lgkmcnt(0)
	s_barrier
	ds_write_b128 v135, v[136:139] offset:16
	v_lshrrev_b32_e32 v81, 16, v84
	v_lshrrev_b32_e32 v83, 16, v86
	v_sub_f16_e32 v138, v82, v88
	v_sub_f16_e32 v135, v84, v92
	v_sub_f16_sdwa v92, v81, v92 dst_sel:DWORD dst_unused:UNUSED_PAD src0_sel:DWORD src1_sel:WORD_1
	v_sub_f16_e32 v136, v86, v94
	v_sub_f16_sdwa v94, v83, v94 dst_sel:DWORD dst_unused:UNUSED_PAD src0_sel:DWORD src1_sel:WORD_1
	v_lshrrev_b32_e32 v137, 16, v82
	v_fma_f16 v139, v82, 2.0, -v138
	v_lshrrev_b32_e32 v82, 16, v80
	v_sub_f16_sdwa v88, v137, v88 dst_sel:DWORD dst_unused:UNUSED_PAD src0_sel:DWORD src1_sel:WORD_1
	v_sub_f16_e32 v145, v80, v90
	v_sub_f16_sdwa v90, v82, v90 dst_sel:DWORD dst_unused:UNUSED_PAD src0_sel:DWORD src1_sel:WORD_1
	v_fma_f16 v146, v81, 2.0, -v92
	v_fma_f16 v81, v83, 2.0, -v94
	;; [unrolled: 1-line block ×4, first 2 shown]
	v_sub_f16_e32 v147, v146, v81
	v_add_f16_e32 v81, v135, v94
	v_add_f16_e32 v90, v138, v90
	v_fma_f16 v86, v86, 2.0, -v136
	v_fma_f16 v80, v80, 2.0, -v145
	v_sub_f16_e32 v94, v92, v136
	v_sub_f16_e32 v136, v137, v82
	;; [unrolled: 1-line block ×3, first 2 shown]
	v_fma_f16 v82, v90, s9, v81
	v_fma_f16 v148, v145, s9, v82
	;; [unrolled: 1-line block ×4, first 2 shown]
	v_fma_f16 v83, v81, 2.0, -v148
	v_fma_f16 v81, v135, 2.0, -v81
	;; [unrolled: 1-line block ×6, first 2 shown]
	v_fma_f16 v94, v90, s8, v81
	v_fma_f16 v84, v84, 2.0, -v135
	v_fma_f16 v94, v88, s9, v94
	v_fma_f16 v88, v88, s8, v92
	v_sub_f16_e32 v86, v84, v86
	v_fma_f16 v88, v90, s8, v88
	v_sub_f16_e32 v80, v139, v80
	v_add_f16_e32 v150, v86, v136
	v_fma_f16 v81, v81, 2.0, -v94
	v_fma_f16 v90, v92, 2.0, -v88
	v_sub_f16_e32 v151, v147, v80
	v_fma_f16 v82, v86, 2.0, -v150
	v_pack_b32_f16 v81, v81, v90
	v_fma_f16 v84, v84, 2.0, -v86
	v_fma_f16 v86, v146, 2.0, -v147
	;; [unrolled: 1-line block ×4, first 2 shown]
	v_sub_f16_e32 v92, v84, v80
	v_sub_f16_e32 v90, v86, v90
	v_fma_f16 v152, v147, 2.0, -v151
	v_fma_f16 v80, v84, 2.0, -v92
	;; [unrolled: 1-line block ×3, first 2 shown]
	v_pack_b32_f16 v83, v83, v153
	v_pack_b32_f16 v82, v82, v152
	;; [unrolled: 1-line block ×3, first 2 shown]
	ds_write_b128 v125, v[80:83]
	v_pack_b32_f16 v83, v148, v149
	v_pack_b32_f16 v82, v150, v151
	;; [unrolled: 1-line block ×4, first 2 shown]
	v_fma_f16 v45, v85, 2.0, -v45
	v_fma_f16 v41, v41, 2.0, -v144
	ds_write_b128 v125, v[80:83] offset:16
	v_fma_f16 v80, v93, 2.0, -v141
	v_fma_f16 v81, v95, 2.0, -v142
	v_pack_b32_f16 v82, v45, v41
	v_fma_f16 v41, v89, 2.0, -v91
	v_fma_f16 v45, v49, 2.0, -v140
	v_pack_b32_f16 v83, v80, v81
	v_pack_b32_f16 v81, v41, v45
	v_fma_f16 v45, v87, 2.0, -v143
	v_fma_f16 v29, v29, 2.0, -v33
	v_lshrrev_b32_e32 v49, 16, v66
	v_lshrrev_b32_e32 v33, 16, v70
	v_pack_b32_f16 v80, v45, v29
	v_lshrrev_b32_e32 v29, 16, v64
	v_lshrrev_b32_e32 v41, 16, v74
	v_sub_f16_e32 v45, v74, v78
	ds_write_b128 v125, v[80:83] offset:16384
	v_sub_f16_sdwa v80, v33, v76 dst_sel:DWORD dst_unused:UNUSED_PAD src0_sel:DWORD src1_sel:WORD_1
	v_sub_f16_sdwa v81, v49, v72 dst_sel:DWORD dst_unused:UNUSED_PAD src0_sel:DWORD src1_sel:WORD_1
	;; [unrolled: 1-line block ×3, first 2 shown]
	v_sub_f16_e32 v72, v66, v72
	v_sub_f16_sdwa v78, v41, v78 dst_sel:DWORD dst_unused:UNUSED_PAD src0_sel:DWORD src1_sel:WORD_1
	v_fma_f16 v33, v33, 2.0, -v80
	v_sub_f16_e32 v76, v70, v76
	v_add_f16_e32 v80, v45, v80
	v_sub_f16_e32 v68, v64, v68
	v_add_f16_e32 v84, v72, v82
	v_fma_f16 v29, v29, 2.0, -v82
	v_fma_f16 v70, v70, 2.0, -v76
	v_sub_f16_e32 v76, v78, v76
	v_fma_f16 v64, v64, 2.0, -v68
	v_sub_f16_e32 v68, v81, v68
	v_fma_f16 v82, v84, s9, v80
	v_fma_f16 v85, v68, s9, v82
	;; [unrolled: 1-line block ×3, first 2 shown]
	v_fma_f16 v74, v74, 2.0, -v45
	v_fma_f16 v66, v66, 2.0, -v72
	v_fma_f16 v86, v84, s8, v82
	v_fma_f16 v45, v45, 2.0, -v80
	v_fma_f16 v72, v72, 2.0, -v84
	;; [unrolled: 1-line block ×6, first 2 shown]
	v_fma_f16 v78, v72, s8, v45
	v_fma_f16 v78, v68, s9, v78
	;; [unrolled: 1-line block ×3, first 2 shown]
	v_fma_f16 v49, v49, 2.0, -v81
	v_sub_f16_e32 v33, v41, v33
	v_sub_f16_e32 v64, v66, v64
	v_fma_f16 v68, v72, s8, v68
	v_sub_f16_e32 v70, v74, v70
	v_sub_f16_e32 v29, v49, v29
	;; [unrolled: 1-line block ×3, first 2 shown]
	v_fma_f16 v45, v45, 2.0, -v78
	v_fma_f16 v72, v76, 2.0, -v68
	v_add_f16_e32 v87, v70, v29
	v_fma_f16 v89, v33, 2.0, -v88
	v_pack_b32_f16 v81, v45, v72
	v_fma_f16 v45, v74, 2.0, -v70
	v_fma_f16 v33, v41, 2.0, -v33
	;; [unrolled: 1-line block ×4, first 2 shown]
	v_sub_f16_e32 v41, v45, v41
	v_sub_f16_e32 v29, v33, v29
	v_fma_f16 v45, v45, 2.0, -v41
	v_fma_f16 v33, v33, 2.0, -v29
	;; [unrolled: 1-line block ×3, first 2 shown]
	v_pack_b32_f16 v80, v45, v33
	v_sub_f16_e32 v45, v75, v79
	v_lshrrev_b32_e32 v66, 16, v71
	v_fma_f16 v82, v70, 2.0, -v87
	v_lshrrev_b32_e32 v33, 16, v75
	v_fma_f16 v64, v75, 2.0, -v45
	v_sub_f16_e32 v70, v71, v77
	v_sub_f16_sdwa v72, v66, v77 dst_sel:DWORD dst_unused:UNUSED_PAD src0_sel:DWORD src1_sel:WORD_1
	v_sub_f16_e32 v75, v67, v73
	v_lshrrev_b32_e32 v76, 16, v65
	v_sub_f16_e32 v77, v65, v69
	v_fma_f16 v71, v71, 2.0, -v70
	v_lshrrev_b32_e32 v74, 16, v67
	v_fma_f16 v67, v67, 2.0, -v75
	v_sub_f16_sdwa v69, v76, v69 dst_sel:DWORD dst_unused:UNUSED_PAD src0_sel:DWORD src1_sel:WORD_1
	v_fma_f16 v65, v65, 2.0, -v77
	v_sub_f16_sdwa v49, v33, v79 dst_sel:DWORD dst_unused:UNUSED_PAD src0_sel:DWORD src1_sel:WORD_1
	v_sub_f16_sdwa v73, v74, v73 dst_sel:DWORD dst_unused:UNUSED_PAD src0_sel:DWORD src1_sel:WORD_1
	v_fma_f16 v66, v66, 2.0, -v72
	v_fma_f16 v76, v76, 2.0, -v69
	v_sub_f16_e32 v71, v64, v71
	v_add_f16_e32 v72, v45, v72
	v_sub_f16_e32 v65, v67, v65
	v_add_f16_e32 v69, v75, v69
	v_pack_b32_f16 v83, v83, v90
	v_pack_b32_f16 v82, v82, v89
	v_fma_f16 v64, v64, 2.0, -v71
	v_sub_f16_e32 v70, v49, v70
	v_fma_f16 v45, v45, 2.0, -v72
	v_fma_f16 v67, v67, 2.0, -v65
	v_sub_f16_e32 v77, v73, v77
	v_fma_f16 v75, v75, 2.0, -v69
	ds_write_b128 v125, v[80:83] offset:32768
	v_fma_f16 v33, v33, 2.0, -v49
	v_fma_f16 v74, v74, 2.0, -v73
	;; [unrolled: 1-line block ×4, first 2 shown]
	v_sub_f16_e32 v82, v64, v67
	v_fma_f16 v67, v75, s8, v45
	v_sub_f16_e32 v76, v74, v76
	v_fma_f16 v83, v73, s9, v67
	v_fma_f16 v67, v73, s8, v49
	v_sub_f16_e32 v66, v33, v66
	v_fma_f16 v73, v75, s8, v67
	v_add_f16_e32 v75, v71, v76
	v_fma_f16 v67, v69, s9, v72
	v_fma_f16 v33, v33, 2.0, -v66
	v_fma_f16 v74, v74, 2.0, -v76
	v_sub_f16_e32 v76, v66, v65
	v_fma_f16 v65, v71, 2.0, -v75
	v_fma_f16 v71, v77, s9, v67
	v_fma_f16 v67, v77, s9, v70
	v_sub_f16_e32 v74, v33, v74
	v_fma_f16 v69, v69, s8, v67
	v_fma_f16 v64, v64, 2.0, -v82
	v_fma_f16 v33, v33, 2.0, -v74
	;; [unrolled: 1-line block ×7, first 2 shown]
	v_pack_b32_f16 v67, v67, v70
	v_pack_b32_f16 v66, v65, v66
	v_pack_b32_f16 v65, v45, v49
	v_pack_b32_f16 v64, v64, v33
	v_pack_b32_f16 v81, v85, v86
	v_pack_b32_f16 v80, v87, v88
	v_pack_b32_f16 v79, v78, v68
	v_pack_b32_f16 v78, v41, v29
	ds_write_b128 v125, v[64:67] offset:49152
	v_pack_b32_f16 v67, v71, v69
	v_pack_b32_f16 v66, v75, v76
	v_pack_b32_f16 v65, v83, v73
	v_pack_b32_f16 v64, v82, v74
	ds_write_b128 v129, v[78:81] offset:16
	ds_write_b128 v126, v[64:67] offset:16
	s_waitcnt lgkmcnt(0)
	s_barrier
	ds_read2st64_b32 v[64:65], v1 offset0:16 offset1:24
	ds_read2st64_b32 v[66:67], v1 offset0:32 offset1:40
	;; [unrolled: 1-line block ×7, first 2 shown]
	s_waitcnt lgkmcnt(4)
	v_lshrrev_b32_e32 v41, 16, v68
	s_waitcnt lgkmcnt(3)
	v_lshrrev_b32_e32 v45, 16, v70
	v_lshrrev_b32_e32 v29, 16, v64
	v_mul_f16_sdwa v84, v10, v29 dst_sel:DWORD dst_unused:UNUSED_PAD src0_sel:WORD_1 src1_sel:DWORD
	v_lshrrev_b32_e32 v33, 16, v66
	v_fma_f16 v84, v10, v64, v84
	v_mul_f16_sdwa v64, v10, v64 dst_sel:DWORD dst_unused:UNUSED_PAD src0_sel:WORD_1 src1_sel:DWORD
	v_fma_f16 v85, v10, v29, -v64
	v_mul_f16_sdwa v29, v11, v33 dst_sel:DWORD dst_unused:UNUSED_PAD src0_sel:WORD_1 src1_sel:DWORD
	v_lshrrev_b32_e32 v49, 16, v65
	v_fma_f16 v86, v11, v66, v29
	v_mul_f16_sdwa v29, v11, v66 dst_sel:DWORD dst_unused:UNUSED_PAD src0_sel:WORD_1 src1_sel:DWORD
	v_fma_f16 v87, v11, v33, -v29
	v_mul_f16_sdwa v29, v10, v49 dst_sel:DWORD dst_unused:UNUSED_PAD src0_sel:WORD_1 src1_sel:DWORD
	v_mul_f16_sdwa v33, v10, v65 dst_sel:DWORD dst_unused:UNUSED_PAD src0_sel:WORD_1 src1_sel:DWORD
	;; [unrolled: 1-line block ×3, first 2 shown]
	v_lshrrev_b32_e32 v81, 16, v67
	v_fma_f16 v29, v10, v65, v29
	v_fma_f16 v88, v12, v41, -v64
	v_mul_f16_sdwa v41, v12, v41 dst_sel:DWORD dst_unused:UNUSED_PAD src0_sel:WORD_1 src1_sel:DWORD
	v_fma_f16 v10, v10, v49, -v33
	v_mul_f16_sdwa v49, v13, v70 dst_sel:DWORD dst_unused:UNUSED_PAD src0_sel:WORD_1 src1_sel:DWORD
	v_lshrrev_b32_e32 v82, 16, v69
	v_fma_f16 v89, v12, v68, v41
	v_mul_f16_sdwa v33, v11, v81 dst_sel:DWORD dst_unused:UNUSED_PAD src0_sel:WORD_1 src1_sel:DWORD
	v_mul_f16_sdwa v41, v11, v67 dst_sel:DWORD dst_unused:UNUSED_PAD src0_sel:WORD_1 src1_sel:DWORD
	v_fma_f16 v90, v13, v45, -v49
	v_mul_f16_sdwa v45, v13, v45 dst_sel:DWORD dst_unused:UNUSED_PAD src0_sel:WORD_1 src1_sel:DWORD
	v_lshrrev_b32_e32 v83, 16, v71
	v_fma_f16 v33, v11, v67, v33
	v_fma_f16 v91, v13, v70, v45
	v_fma_f16 v41, v11, v81, -v41
	v_mul_f16_sdwa v11, v12, v82 dst_sel:DWORD dst_unused:UNUSED_PAD src0_sel:WORD_1 src1_sel:DWORD
	v_mul_f16_sdwa v45, v12, v69 dst_sel:DWORD dst_unused:UNUSED_PAD src0_sel:WORD_1 src1_sel:DWORD
	s_waitcnt lgkmcnt(2)
	v_lshrrev_b32_e32 v78, 16, v72
	v_fma_f16 v11, v12, v69, v11
	v_fma_f16 v12, v12, v82, -v45
	v_mul_f16_sdwa v45, v13, v83 dst_sel:DWORD dst_unused:UNUSED_PAD src0_sel:WORD_1 src1_sel:DWORD
	v_mul_f16_sdwa v49, v13, v71 dst_sel:DWORD dst_unused:UNUSED_PAD src0_sel:WORD_1 src1_sel:DWORD
	v_fma_f16 v45, v13, v71, v45
	ds_read2st64_b32 v[66:67], v1 offset0:128 offset1:136
	v_fma_f16 v49, v13, v83, -v49
	v_mul_f16_sdwa v13, v6, v78 dst_sel:DWORD dst_unused:UNUSED_PAD src0_sel:WORD_1 src1_sel:DWORD
	s_waitcnt lgkmcnt(2)
	v_lshrrev_b32_e32 v79, 16, v74
	v_lshrrev_b32_e32 v64, 16, v73
	v_fma_f16 v81, v6, v72, v13
	v_mul_f16_sdwa v13, v6, v72 dst_sel:DWORD dst_unused:UNUSED_PAD src0_sel:WORD_1 src1_sel:DWORD
	v_mul_f16_sdwa v70, v7, v74 dst_sel:DWORD dst_unused:UNUSED_PAD src0_sel:WORD_1 src1_sel:DWORD
	v_lshrrev_b32_e32 v65, 16, v75
	v_fma_f16 v78, v6, v78, -v13
	v_mul_f16_sdwa v13, v6, v64 dst_sel:DWORD dst_unused:UNUSED_PAD src0_sel:WORD_1 src1_sel:DWORD
	v_mul_f16_sdwa v69, v6, v73 dst_sel:DWORD dst_unused:UNUSED_PAD src0_sel:WORD_1 src1_sel:DWORD
	v_fma_f16 v82, v7, v79, -v70
	v_mul_f16_sdwa v70, v7, v79 dst_sel:DWORD dst_unused:UNUSED_PAD src0_sel:WORD_1 src1_sel:DWORD
	s_waitcnt lgkmcnt(1)
	v_lshrrev_b32_e32 v80, 16, v76
	v_lshrrev_b32_e32 v68, 16, v77
	v_fma_f16 v13, v6, v73, v13
	v_fma_f16 v79, v7, v74, v70
	v_fma_f16 v6, v6, v64, -v69
	v_mul_f16_sdwa v64, v7, v65 dst_sel:DWORD dst_unused:UNUSED_PAD src0_sel:WORD_1 src1_sel:DWORD
	v_mul_f16_sdwa v69, v7, v75 dst_sel:DWORD dst_unused:UNUSED_PAD src0_sel:WORD_1 src1_sel:DWORD
	;; [unrolled: 1-line block ×3, first 2 shown]
	v_fma_f16 v64, v7, v75, v64
	v_fma_f16 v83, v8, v80, -v70
	v_mul_f16_sdwa v70, v8, v80 dst_sel:DWORD dst_unused:UNUSED_PAD src0_sel:WORD_1 src1_sel:DWORD
	v_fma_f16 v65, v7, v65, -v69
	v_mul_f16_sdwa v7, v8, v68 dst_sel:DWORD dst_unused:UNUSED_PAD src0_sel:WORD_1 src1_sel:DWORD
	v_mul_f16_sdwa v69, v8, v77 dst_sel:DWORD dst_unused:UNUSED_PAD src0_sel:WORD_1 src1_sel:DWORD
	v_fma_f16 v76, v8, v76, v70
	v_fma_f16 v7, v8, v77, v7
	s_waitcnt lgkmcnt(0)
	v_lshrrev_b32_e32 v70, 16, v66
	v_fma_f16 v8, v8, v68, -v69
	v_mul_f16_sdwa v68, v9, v66 dst_sel:DWORD dst_unused:UNUSED_PAD src0_sel:WORD_1 src1_sel:DWORD
	v_fma_f16 v77, v9, v70, -v68
	v_mul_f16_sdwa v68, v9, v70 dst_sel:DWORD dst_unused:UNUSED_PAD src0_sel:WORD_1 src1_sel:DWORD
	ds_read2st64_b32 v[70:71], v1 offset0:144 offset1:152
	v_fma_f16 v80, v9, v66, v68
	v_lshrrev_b32_e32 v66, 16, v67
	v_mul_f16_sdwa v68, v9, v66 dst_sel:DWORD dst_unused:UNUSED_PAD src0_sel:WORD_1 src1_sel:DWORD
	ds_read2st64_b32 v[72:73], v1 offset0:160 offset1:168
	v_fma_f16 v68, v9, v67, v68
	v_mul_f16_sdwa v67, v9, v67 dst_sel:DWORD dst_unused:UNUSED_PAD src0_sel:WORD_1 src1_sel:DWORD
	v_fma_f16 v67, v9, v66, -v67
	s_waitcnt lgkmcnt(1)
	v_lshrrev_b32_e32 v9, 16, v70
	v_mul_f16_sdwa v66, v2, v70 dst_sel:DWORD dst_unused:UNUSED_PAD src0_sel:WORD_1 src1_sel:DWORD
	v_fma_f16 v92, v2, v9, -v66
	v_mul_f16_sdwa v9, v2, v9 dst_sel:DWORD dst_unused:UNUSED_PAD src0_sel:WORD_1 src1_sel:DWORD
	v_lshrrev_b32_e32 v66, 16, v71
	v_fma_f16 v93, v2, v70, v9
	v_mul_f16_sdwa v9, v2, v66 dst_sel:DWORD dst_unused:UNUSED_PAD src0_sel:WORD_1 src1_sel:DWORD
	v_mul_f16_sdwa v69, v2, v71 dst_sel:DWORD dst_unused:UNUSED_PAD src0_sel:WORD_1 src1_sel:DWORD
	v_fma_f16 v9, v2, v71, v9
	v_fma_f16 v66, v2, v66, -v69
	s_waitcnt lgkmcnt(0)
	v_lshrrev_b32_e32 v2, 16, v72
	v_mul_f16_sdwa v69, v3, v72 dst_sel:DWORD dst_unused:UNUSED_PAD src0_sel:WORD_1 src1_sel:DWORD
	ds_read2st64_b32 v[74:75], v1 offset0:176 offset1:184
	v_fma_f16 v94, v3, v2, -v69
	v_mul_f16_sdwa v2, v3, v2 dst_sel:DWORD dst_unused:UNUSED_PAD src0_sel:WORD_1 src1_sel:DWORD
	v_fma_f16 v95, v3, v72, v2
	v_lshrrev_b32_e32 v2, 16, v73
	v_mul_f16_sdwa v69, v3, v2 dst_sel:DWORD dst_unused:UNUSED_PAD src0_sel:WORD_1 src1_sel:DWORD
	v_fma_f16 v70, v3, v73, v69
	v_mul_f16_sdwa v69, v3, v73 dst_sel:DWORD dst_unused:UNUSED_PAD src0_sel:WORD_1 src1_sel:DWORD
	v_fma_f16 v71, v3, v2, -v69
	s_waitcnt lgkmcnt(0)
	v_lshrrev_b32_e32 v2, 16, v74
	v_mul_f16_sdwa v3, v4, v74 dst_sel:DWORD dst_unused:UNUSED_PAD src0_sel:WORD_1 src1_sel:DWORD
	v_fma_f16 v125, v4, v2, -v3
	v_mul_f16_sdwa v2, v4, v2 dst_sel:DWORD dst_unused:UNUSED_PAD src0_sel:WORD_1 src1_sel:DWORD
	v_fma_f16 v74, v4, v74, v2
	ds_read2st64_b32 v[2:3], v1 offset0:192 offset1:200
	v_lshrrev_b32_e32 v72, 16, v75
	v_mul_f16_sdwa v69, v4, v72 dst_sel:DWORD dst_unused:UNUSED_PAD src0_sel:WORD_1 src1_sel:DWORD
	v_mul_f16_sdwa v73, v4, v75 dst_sel:DWORD dst_unused:UNUSED_PAD src0_sel:WORD_1 src1_sel:DWORD
	v_fma_f16 v69, v4, v75, v69
	v_fma_f16 v4, v4, v72, -v73
	s_waitcnt lgkmcnt(0)
	v_lshrrev_b32_e32 v72, 16, v2
	v_mul_f16_sdwa v73, v5, v2 dst_sel:DWORD dst_unused:UNUSED_PAD src0_sel:WORD_1 src1_sel:DWORD
	v_fma_f16 v75, v5, v72, -v73
	v_mul_f16_sdwa v72, v5, v72 dst_sel:DWORD dst_unused:UNUSED_PAD src0_sel:WORD_1 src1_sel:DWORD
	v_fma_f16 v126, v5, v2, v72
	ds_read2st64_b32 v[72:73], v1 offset0:208 offset1:216
	v_lshrrev_b32_e32 v2, 16, v3
	v_mul_f16_sdwa v129, v5, v2 dst_sel:DWORD dst_unused:UNUSED_PAD src0_sel:WORD_1 src1_sel:DWORD
	v_fma_f16 v129, v5, v3, v129
	v_mul_f16_sdwa v3, v5, v3 dst_sel:DWORD dst_unused:UNUSED_PAD src0_sel:WORD_1 src1_sel:DWORD
	v_fma_f16 v5, v5, v2, -v3
	s_waitcnt lgkmcnt(0)
	v_lshrrev_b32_e32 v2, 16, v72
	v_mul_f16_sdwa v3, v18, v72 dst_sel:DWORD dst_unused:UNUSED_PAD src0_sel:WORD_1 src1_sel:DWORD
	v_fma_f16 v135, v18, v2, -v3
	v_mul_f16_sdwa v2, v18, v2 dst_sel:DWORD dst_unused:UNUSED_PAD src0_sel:WORD_1 src1_sel:DWORD
	v_fma_f16 v136, v18, v72, v2
	ds_read2st64_b32 v[2:3], v1 offset0:224 offset1:232
	v_lshrrev_b32_e32 v72, 16, v73
	v_mul_f16_sdwa v137, v18, v72 dst_sel:DWORD dst_unused:UNUSED_PAD src0_sel:WORD_1 src1_sel:DWORD
	v_fma_f16 v137, v18, v73, v137
	v_mul_f16_sdwa v73, v18, v73 dst_sel:DWORD dst_unused:UNUSED_PAD src0_sel:WORD_1 src1_sel:DWORD
	;; [unrolled: 12-line block ×3, first 2 shown]
	v_fma_f16 v19, v19, v2, -v3
	s_waitcnt lgkmcnt(0)
	v_lshrrev_b32_e32 v2, 16, v72
	v_mul_f16_sdwa v3, v20, v72 dst_sel:DWORD dst_unused:UNUSED_PAD src0_sel:WORD_1 src1_sel:DWORD
	v_fma_f16 v141, v20, v2, -v3
	v_mul_f16_sdwa v2, v20, v2 dst_sel:DWORD dst_unused:UNUSED_PAD src0_sel:WORD_1 src1_sel:DWORD
	v_fma_f16 v72, v20, v72, v2
	ds_read2st64_b32 v[2:3], v1 offset1:8
	v_lshrrev_b32_e32 v142, 16, v73
	v_mul_f16_sdwa v143, v20, v142 dst_sel:DWORD dst_unused:UNUSED_PAD src0_sel:WORD_1 src1_sel:DWORD
	v_fma_f16 v143, v20, v73, v143
	v_mul_f16_sdwa v73, v20, v73 dst_sel:DWORD dst_unused:UNUSED_PAD src0_sel:WORD_1 src1_sel:DWORD
	v_fma_f16 v20, v20, v142, -v73
	s_waitcnt lgkmcnt(0)
	v_sub_f16_e32 v73, v2, v80
	v_lshrrev_b32_e32 v80, 16, v2
	v_sub_f16_e32 v75, v90, v75
	v_sub_f16_e32 v95, v86, v95
	;; [unrolled: 1-line block ×5, first 2 shown]
	v_fma_f16 v90, v90, 2.0, -v75
	v_sub_f16_e32 v94, v87, v94
	v_sub_f16_e32 v139, v79, v139
	v_fma_f16 v82, v82, 2.0, -v138
	v_add_f16_e32 v75, v73, v75
	v_add_f16_e32 v138, v95, v138
	v_fma_f16 v91, v91, 2.0, -v126
	v_fma_f16 v86, v86, 2.0, -v95
	v_fma_f16 v79, v79, 2.0, -v139
	v_sub_f16_e32 v126, v77, v126
	v_sub_f16_e32 v139, v94, v139
	v_fma_f16 v95, v95, 2.0, -v138
	v_fma_f16 v142, v73, 2.0, -v75
	;; [unrolled: 1-line block ×6, first 2 shown]
	v_fma_f16 v144, v95, s8, v142
	v_fma_f16 v144, v94, s9, v144
	;; [unrolled: 1-line block ×4, first 2 shown]
	v_sub_f16_e32 v93, v84, v93
	v_sub_f16_e32 v95, v81, v136
	;; [unrolled: 1-line block ×6, first 2 shown]
	v_fma_f16 v78, v78, 2.0, -v135
	v_sub_f16_e32 v125, v88, v125
	v_sub_f16_e32 v72, v76, v72
	v_fma_f16 v83, v83, 2.0, -v136
	v_add_f16_e32 v135, v93, v135
	v_add_f16_e32 v136, v74, v136
	v_fma_f16 v84, v84, 2.0, -v93
	v_fma_f16 v85, v85, 2.0, -v92
	;; [unrolled: 1-line block ×6, first 2 shown]
	v_sub_f16_e32 v95, v92, v95
	v_fma_f16 v93, v93, 2.0, -v135
	v_sub_f16_e32 v72, v125, v72
	v_fma_f16 v74, v74, 2.0, -v136
	v_fma_f16 v2, v2, 2.0, -v73
	;; [unrolled: 1-line block ×4, first 2 shown]
	v_fma_f16 v141, v74, s8, v93
	v_sub_f16_e32 v73, v2, v91
	v_sub_f16_e32 v90, v80, v90
	;; [unrolled: 1-line block ×8, first 2 shown]
	v_fma_f16 v141, v125, s9, v141
	v_fma_f16 v125, v125, s8, v92
	v_fma_f16 v2, v2, 2.0, -v73
	v_fma_f16 v80, v80, 2.0, -v90
	;; [unrolled: 1-line block ×8, first 2 shown]
	v_fma_f16 v74, v74, s8, v125
	v_fma_f16 v125, v142, 2.0, -v144
	v_fma_f16 v93, v93, 2.0, -v141
	v_sub_f16_e32 v86, v2, v86
	v_sub_f16_e32 v87, v80, v87
	;; [unrolled: 1-line block ×4, first 2 shown]
	v_fma_f16 v77, v77, 2.0, -v94
	v_fma_f16 v92, v92, 2.0, -v74
	v_fma_f16 v142, v93, s13, v125
	v_fma_f16 v2, v2, 2.0, -v86
	v_fma_f16 v80, v80, 2.0, -v87
	;; [unrolled: 1-line block ×4, first 2 shown]
	v_fma_f16 v142, v92, s14, v142
	v_fma_f16 v92, v92, s13, v77
	v_sub_f16_e32 v84, v2, v84
	v_sub_f16_e32 v85, v80, v85
	v_fma_f16 v92, v93, s12, v92
	v_fma_f16 v2, v2, 2.0, -v84
	v_fma_f16 v80, v80, 2.0, -v85
	v_pack_b32_f16 v2, v2, v80
	v_fma_f16 v80, v125, 2.0, -v142
	v_fma_f16 v77, v77, 2.0, -v92
	v_pack_b32_f16 v77, v80, v77
	v_add_f16_e32 v82, v73, v82
	v_add_f16_e32 v83, v81, v83
	s_barrier
	ds_write2_b32 v124, v2, v77 offset1:8
	v_fma_f16 v2, v138, s9, v75
	v_fma_f16 v80, v136, s9, v135
	v_sub_f16_e32 v79, v90, v79
	v_fma_f16 v73, v73, 2.0, -v82
	v_sub_f16_e32 v76, v78, v76
	v_fma_f16 v81, v81, 2.0, -v83
	v_fma_f16 v2, v139, s9, v2
	v_fma_f16 v77, v139, s9, v126
	;; [unrolled: 1-line block ×4, first 2 shown]
	v_fma_f16 v90, v90, 2.0, -v79
	v_fma_f16 v78, v78, 2.0, -v76
	v_fma_f16 v91, v81, s8, v73
	v_fma_f16 v77, v138, s8, v77
	;; [unrolled: 1-line block ×5, first 2 shown]
	v_fma_f16 v75, v75, 2.0, -v2
	v_fma_f16 v93, v135, 2.0, -v80
	v_fma_f16 v78, v81, s8, v78
	v_fma_f16 v81, v126, 2.0, -v77
	v_fma_f16 v95, v95, 2.0, -v72
	v_fma_f16 v125, v93, s12, v75
	v_fma_f16 v125, v95, s15, v125
	;; [unrolled: 1-line block ×4, first 2 shown]
	v_fma_f16 v73, v73, 2.0, -v91
	v_fma_f16 v90, v90, 2.0, -v78
	;; [unrolled: 1-line block ×4, first 2 shown]
	v_pack_b32_f16 v73, v73, v90
	v_pack_b32_f16 v75, v75, v81
	ds_write2_b32 v124, v73, v75 offset0:16 offset1:24
	v_fma_f16 v73, v141, s14, v144
	v_fma_f16 v73, v74, s15, v73
	;; [unrolled: 1-line block ×3, first 2 shown]
	v_add_f16_e32 v75, v86, v88
	v_sub_f16_e32 v81, v87, v89
	v_fma_f16 v74, v141, s13, v74
	v_fma_f16 v86, v86, 2.0, -v75
	v_fma_f16 v87, v87, 2.0, -v81
	v_pack_b32_f16 v86, v86, v87
	v_fma_f16 v87, v144, 2.0, -v73
	v_fma_f16 v88, v94, 2.0, -v74
	v_pack_b32_f16 v87, v87, v88
	ds_write2_b32 v124, v86, v87 offset0:32 offset1:40
	v_fma_f16 v86, v83, s9, v82
	v_fma_f16 v86, v76, s9, v86
	;; [unrolled: 1-line block ×8, first 2 shown]
	v_fma_f16 v80, v82, 2.0, -v86
	v_fma_f16 v79, v79, 2.0, -v76
	;; [unrolled: 1-line block ×4, first 2 shown]
	v_pack_b32_f16 v79, v80, v79
	v_pack_b32_f16 v2, v2, v77
	ds_write2_b32 v124, v79, v2 offset0:48 offset1:56
	v_pack_b32_f16 v2, v84, v85
	v_pack_b32_f16 v77, v142, v92
	ds_write2_b32 v124, v2, v77 offset0:64 offset1:72
	v_sub_f16_e32 v2, v3, v68
	v_lshrrev_b32_e32 v68, 16, v3
	v_sub_f16_e32 v5, v49, v5
	v_sub_f16_e32 v70, v33, v70
	;; [unrolled: 1-line block ×5, first 2 shown]
	v_fma_f16 v49, v49, 2.0, -v5
	v_sub_f16_e32 v71, v41, v71
	v_sub_f16_e32 v79, v64, v140
	v_fma_f16 v65, v65, 2.0, -v19
	v_add_f16_e32 v5, v2, v5
	v_add_f16_e32 v19, v70, v19
	v_fma_f16 v3, v3, 2.0, -v2
	v_fma_f16 v45, v45, 2.0, -v77
	;; [unrolled: 1-line block ×4, first 2 shown]
	v_sub_f16_e32 v77, v67, v77
	v_fma_f16 v2, v2, 2.0, -v5
	v_sub_f16_e32 v79, v71, v79
	v_fma_f16 v70, v70, 2.0, -v19
	v_fma_f16 v68, v68, 2.0, -v67
	;; [unrolled: 1-line block ×5, first 2 shown]
	v_fma_f16 v80, v70, s8, v2
	v_fma_f16 v80, v71, s9, v80
	;; [unrolled: 1-line block ×7, first 2 shown]
	v_sub_f16_e32 v9, v29, v9
	v_sub_f16_e32 v18, v6, v18
	;; [unrolled: 1-line block ×4, first 2 shown]
	v_fma_f16 v19, v19, s8, v79
	v_sub_f16_e32 v66, v10, v66
	v_sub_f16_e32 v79, v13, v137
	v_fma_f16 v6, v6, 2.0, -v18
	v_sub_f16_e32 v4, v12, v4
	v_sub_f16_e32 v82, v7, v143
	v_fma_f16 v8, v8, 2.0, -v20
	v_add_f16_e32 v18, v9, v18
	v_add_f16_e32 v20, v69, v20
	v_fma_f16 v29, v29, 2.0, -v9
	v_fma_f16 v13, v13, 2.0, -v79
	;; [unrolled: 1-line block ×4, first 2 shown]
	v_sub_f16_e32 v79, v66, v79
	v_fma_f16 v9, v9, 2.0, -v18
	v_sub_f16_e32 v82, v4, v82
	v_fma_f16 v69, v69, 2.0, -v20
	v_fma_f16 v10, v10, 2.0, -v66
	;; [unrolled: 1-line block ×5, first 2 shown]
	v_fma_f16 v84, v69, s8, v9
	v_fma_f16 v84, v4, s9, v84
	;; [unrolled: 1-line block ×7, first 2 shown]
	v_fma_f16 v2, v2, 2.0, -v80
	v_fma_f16 v9, v9, 2.0, -v84
	v_sub_f16_e32 v45, v3, v45
	v_sub_f16_e32 v65, v41, v65
	;; [unrolled: 1-line block ×4, first 2 shown]
	v_fma_f16 v20, v20, s8, v82
	v_fma_f16 v67, v67, 2.0, -v70
	v_fma_f16 v66, v66, 2.0, -v4
	v_fma_f16 v82, v9, s13, v2
	v_sub_f16_e32 v49, v68, v49
	v_sub_f16_e32 v64, v33, v64
	v_fma_f16 v41, v41, 2.0, -v65
	v_sub_f16_e32 v6, v10, v6
	v_sub_f16_e32 v7, v11, v7
	v_fma_f16 v12, v12, 2.0, -v8
	v_add_f16_e32 v65, v45, v65
	v_add_f16_e32 v8, v13, v8
	v_fma_f16 v82, v66, s14, v82
	v_fma_f16 v66, v66, s13, v67
	v_fma_f16 v3, v3, 2.0, -v45
	v_fma_f16 v33, v33, 2.0, -v64
	;; [unrolled: 1-line block ×4, first 2 shown]
	v_sub_f16_e32 v64, v49, v64
	v_fma_f16 v45, v45, 2.0, -v65
	v_sub_f16_e32 v7, v6, v7
	v_fma_f16 v13, v13, 2.0, -v8
	v_fma_f16 v9, v9, s12, v66
	v_fma_f16 v66, v68, 2.0, -v49
	v_fma_f16 v10, v10, 2.0, -v6
	;; [unrolled: 1-line block ×4, first 2 shown]
	v_fma_f16 v68, v13, s8, v45
	v_fma_f16 v68, v6, s9, v68
	;; [unrolled: 1-line block ×3, first 2 shown]
	v_fma_f16 v5, v5, 2.0, -v71
	v_fma_f16 v18, v18, 2.0, -v69
	v_fma_f16 v6, v13, s8, v6
	v_fma_f16 v13, v77, 2.0, -v19
	v_fma_f16 v77, v79, 2.0, -v20
	v_fma_f16 v79, v18, s12, v5
	v_fma_f16 v79, v77, s15, v79
	;; [unrolled: 1-line block ×7, first 2 shown]
	v_sub_f16_e32 v33, v3, v33
	v_sub_f16_e32 v41, v66, v41
	;; [unrolled: 1-line block ×4, first 2 shown]
	v_fma_f16 v4, v84, s13, v4
	v_fma_f16 v84, v8, s9, v65
	v_fma_f16 v3, v3, 2.0, -v33
	v_fma_f16 v66, v66, 2.0, -v41
	;; [unrolled: 1-line block ×4, first 2 shown]
	v_fma_f16 v84, v7, s9, v84
	v_fma_f16 v7, v7, s9, v64
	v_sub_f16_e32 v29, v3, v29
	v_sub_f16_e32 v10, v66, v10
	v_fma_f16 v7, v8, s8, v7
	v_fma_f16 v8, v69, s15, v71
	v_fma_f16 v3, v3, 2.0, -v29
	v_fma_f16 v66, v66, 2.0, -v10
	;; [unrolled: 1-line block ×4, first 2 shown]
	v_fma_f16 v8, v20, s14, v8
	v_fma_f16 v20, v20, s15, v19
	v_fma_f16 v45, v45, 2.0, -v68
	v_fma_f16 v49, v49, 2.0, -v6
	;; [unrolled: 1-line block ×4, first 2 shown]
	v_add_f16_e32 v12, v33, v12
	v_sub_f16_e32 v11, v41, v11
	v_pack_b32_f16 v3, v3, v66
	v_pack_b32_f16 v2, v2, v67
	v_fma_f16 v20, v69, s12, v20
	v_pack_b32_f16 v69, v91, v78
	v_fma_f16 v33, v33, 2.0, -v12
	v_fma_f16 v41, v41, 2.0, -v11
	;; [unrolled: 1-line block ×4, first 2 shown]
	ds_write2_b32 v128, v3, v2 offset1:8
	v_pack_b32_f16 v2, v45, v49
	v_pack_b32_f16 v3, v5, v13
	v_fma_f16 v65, v65, 2.0, -v84
	v_fma_f16 v64, v64, 2.0, -v7
	;; [unrolled: 1-line block ×4, first 2 shown]
	ds_write2_b32 v128, v2, v3 offset0:16 offset1:24
	v_pack_b32_f16 v2, v33, v41
	v_pack_b32_f16 v3, v78, v70
	ds_write2_b32 v128, v2, v3 offset0:32 offset1:40
	v_pack_b32_f16 v2, v65, v64
	v_pack_b32_f16 v3, v71, v19
	;; [unrolled: 3-line block ×3, first 2 shown]
	v_pack_b32_f16 v80, v125, v93
	ds_write2_b32 v128, v2, v3 offset0:64 offset1:72
	v_pack_b32_f16 v2, v68, v6
	v_pack_b32_f16 v3, v79, v18
	ds_write2_b32 v124, v69, v80 offset0:80 offset1:88
	v_pack_b32_f16 v69, v75, v81
	;; [unrolled: 3-line block ×5, first 2 shown]
	v_pack_b32_f16 v3, v8, v20
	ds_write2_b32 v124, v69, v72 offset0:112 offset1:120
	ds_write2_b32 v128, v2, v3 offset0:112 offset1:120
	s_waitcnt lgkmcnt(0)
	s_barrier
	ds_read2st64_b32 v[2:3], v1 offset0:64 offset1:72
	ds_read2st64_b32 v[4:5], v1 offset0:128 offset1:136
	;; [unrolled: 1-line block ×9, first 2 shown]
	s_waitcnt lgkmcnt(8)
	v_lshrrev_b32_e32 v20, 16, v2
	v_mul_f16_sdwa v87, v22, v20 dst_sel:DWORD dst_unused:UNUSED_PAD src0_sel:WORD_1 src1_sel:DWORD
	v_lshrrev_b32_e32 v41, 16, v3
	v_fma_f16 v87, v22, v2, v87
	v_mul_f16_sdwa v2, v22, v2 dst_sel:DWORD dst_unused:UNUSED_PAD src0_sel:WORD_1 src1_sel:DWORD
	v_fma_f16 v20, v22, v20, -v2
	v_mul_f16_sdwa v2, v22, v41 dst_sel:DWORD dst_unused:UNUSED_PAD src0_sel:WORD_1 src1_sel:DWORD
	s_waitcnt lgkmcnt(7)
	v_lshrrev_b32_e32 v29, 16, v4
	v_lshrrev_b32_e32 v45, 16, v5
	v_fma_f16 v88, v22, v3, v2
	v_mul_f16_sdwa v2, v22, v3 dst_sel:DWORD dst_unused:UNUSED_PAD src0_sel:WORD_1 src1_sel:DWORD
	v_mul_f16_sdwa v3, v23, v4 dst_sel:DWORD dst_unused:UNUSED_PAD src0_sel:WORD_1 src1_sel:DWORD
	v_fma_f16 v89, v23, v29, -v3
	v_mul_f16_sdwa v3, v23, v29 dst_sel:DWORD dst_unused:UNUSED_PAD src0_sel:WORD_1 src1_sel:DWORD
	v_fma_f16 v41, v22, v41, -v2
	v_mul_f16_sdwa v2, v23, v45 dst_sel:DWORD dst_unused:UNUSED_PAD src0_sel:WORD_1 src1_sel:DWORD
	s_waitcnt lgkmcnt(6)
	v_lshrrev_b32_e32 v33, 16, v6
	v_lshrrev_b32_e32 v49, 16, v7
	v_fma_f16 v29, v23, v4, v3
	v_fma_f16 v90, v23, v5, v2
	v_mul_f16_sdwa v2, v23, v5 dst_sel:DWORD dst_unused:UNUSED_PAD src0_sel:WORD_1 src1_sel:DWORD
	v_mul_f16_sdwa v3, v24, v6 dst_sel:DWORD dst_unused:UNUSED_PAD src0_sel:WORD_1 src1_sel:DWORD
	v_fma_f16 v91, v24, v33, -v3
	v_mul_f16_sdwa v3, v24, v33 dst_sel:DWORD dst_unused:UNUSED_PAD src0_sel:WORD_1 src1_sel:DWORD
	v_fma_f16 v33, v23, v45, -v2
	v_mul_f16_sdwa v2, v24, v49 dst_sel:DWORD dst_unused:UNUSED_PAD src0_sel:WORD_1 src1_sel:DWORD
	s_waitcnt lgkmcnt(5)
	v_lshrrev_b32_e32 v72, 16, v8
	v_fma_f16 v45, v24, v7, v2
	v_mul_f16_sdwa v2, v24, v7 dst_sel:DWORD dst_unused:UNUSED_PAD src0_sel:WORD_1 src1_sel:DWORD
	v_fma_f16 v49, v24, v49, -v2
	v_mul_f16_sdwa v2, v22, v72 dst_sel:DWORD dst_unused:UNUSED_PAD src0_sel:WORD_1 src1_sel:DWORD
	v_lshrrev_b32_e32 v75, 16, v9
	v_fma_f16 v92, v22, v8, v2
	v_mul_f16_sdwa v2, v22, v8 dst_sel:DWORD dst_unused:UNUSED_PAD src0_sel:WORD_1 src1_sel:DWORD
	v_fma_f16 v72, v22, v72, -v2
	v_mul_f16_sdwa v2, v22, v75 dst_sel:DWORD dst_unused:UNUSED_PAD src0_sel:WORD_1 src1_sel:DWORD
	s_waitcnt lgkmcnt(4)
	v_lshrrev_b32_e32 v73, 16, v10
	v_lshrrev_b32_e32 v76, 16, v11
	v_fma_f16 v6, v24, v6, v3
	v_fma_f16 v93, v22, v9, v2
	v_mul_f16_sdwa v2, v22, v9 dst_sel:DWORD dst_unused:UNUSED_PAD src0_sel:WORD_1 src1_sel:DWORD
	v_mul_f16_sdwa v3, v23, v10 dst_sel:DWORD dst_unused:UNUSED_PAD src0_sel:WORD_1 src1_sel:DWORD
	v_fma_f16 v94, v23, v73, -v3
	v_mul_f16_sdwa v3, v23, v73 dst_sel:DWORD dst_unused:UNUSED_PAD src0_sel:WORD_1 src1_sel:DWORD
	v_fma_f16 v73, v22, v75, -v2
	v_mul_f16_sdwa v2, v23, v76 dst_sel:DWORD dst_unused:UNUSED_PAD src0_sel:WORD_1 src1_sel:DWORD
	s_waitcnt lgkmcnt(3)
	v_lshrrev_b32_e32 v74, 16, v12
	v_lshrrev_b32_e32 v77, 16, v13
	v_fma_f16 v10, v23, v10, v3
	v_fma_f16 v75, v23, v11, v2
	v_mul_f16_sdwa v2, v23, v11 dst_sel:DWORD dst_unused:UNUSED_PAD src0_sel:WORD_1 src1_sel:DWORD
	v_mul_f16_sdwa v3, v24, v12 dst_sel:DWORD dst_unused:UNUSED_PAD src0_sel:WORD_1 src1_sel:DWORD
	v_fma_f16 v11, v24, v74, -v3
	v_mul_f16_sdwa v3, v24, v74 dst_sel:DWORD dst_unused:UNUSED_PAD src0_sel:WORD_1 src1_sel:DWORD
	v_fma_f16 v74, v23, v76, -v2
	v_mul_f16_sdwa v2, v24, v77 dst_sel:DWORD dst_unused:UNUSED_PAD src0_sel:WORD_1 src1_sel:DWORD
	s_waitcnt lgkmcnt(2)
	v_lshrrev_b32_e32 v78, 16, v18
	v_fma_f16 v76, v24, v13, v2
	v_mul_f16_sdwa v2, v24, v13 dst_sel:DWORD dst_unused:UNUSED_PAD src0_sel:WORD_1 src1_sel:DWORD
	v_fma_f16 v13, v24, v77, -v2
	v_mul_f16_sdwa v2, v22, v78 dst_sel:DWORD dst_unused:UNUSED_PAD src0_sel:WORD_1 src1_sel:DWORD
	v_lshrrev_b32_e32 v81, 16, v19
	v_fma_f16 v77, v22, v18, v2
	v_mul_f16_sdwa v2, v22, v18 dst_sel:DWORD dst_unused:UNUSED_PAD src0_sel:WORD_1 src1_sel:DWORD
	v_fma_f16 v18, v22, v78, -v2
	v_mul_f16_sdwa v2, v22, v81 dst_sel:DWORD dst_unused:UNUSED_PAD src0_sel:WORD_1 src1_sel:DWORD
	s_waitcnt lgkmcnt(1)
	v_lshrrev_b32_e32 v79, 16, v64
	ds_read2st64_b32 v[68:69], v1 offset0:112 offset1:120
	ds_read2st64_b32 v[70:71], v1 offset0:176 offset1:184
	v_lshrrev_b32_e32 v82, 16, v65
	v_fma_f16 v12, v24, v12, v3
	v_fma_f16 v78, v22, v19, v2
	v_mul_f16_sdwa v2, v22, v19 dst_sel:DWORD dst_unused:UNUSED_PAD src0_sel:WORD_1 src1_sel:DWORD
	v_mul_f16_sdwa v3, v23, v64 dst_sel:DWORD dst_unused:UNUSED_PAD src0_sel:WORD_1 src1_sel:DWORD
	v_fma_f16 v19, v23, v79, -v3
	v_mul_f16_sdwa v3, v23, v79 dst_sel:DWORD dst_unused:UNUSED_PAD src0_sel:WORD_1 src1_sel:DWORD
	v_fma_f16 v79, v22, v81, -v2
	v_mul_f16_sdwa v2, v23, v82 dst_sel:DWORD dst_unused:UNUSED_PAD src0_sel:WORD_1 src1_sel:DWORD
	s_waitcnt lgkmcnt(2)
	v_lshrrev_b32_e32 v80, 16, v66
	v_lshrrev_b32_e32 v83, 16, v67
	v_fma_f16 v64, v23, v64, v3
	v_fma_f16 v81, v23, v65, v2
	v_mul_f16_sdwa v2, v23, v65 dst_sel:DWORD dst_unused:UNUSED_PAD src0_sel:WORD_1 src1_sel:DWORD
	v_mul_f16_sdwa v3, v24, v66 dst_sel:DWORD dst_unused:UNUSED_PAD src0_sel:WORD_1 src1_sel:DWORD
	v_fma_f16 v65, v24, v80, -v3
	v_mul_f16_sdwa v3, v24, v80 dst_sel:DWORD dst_unused:UNUSED_PAD src0_sel:WORD_1 src1_sel:DWORD
	v_fma_f16 v80, v23, v82, -v2
	v_mul_f16_sdwa v2, v24, v83 dst_sel:DWORD dst_unused:UNUSED_PAD src0_sel:WORD_1 src1_sel:DWORD
	s_waitcnt lgkmcnt(1)
	v_lshrrev_b32_e32 v84, 16, v68
	v_fma_f16 v82, v24, v67, v2
	v_mul_f16_sdwa v2, v24, v67 dst_sel:DWORD dst_unused:UNUSED_PAD src0_sel:WORD_1 src1_sel:DWORD
	v_fma_f16 v67, v24, v83, -v2
	v_mul_f16_sdwa v2, v22, v84 dst_sel:DWORD dst_unused:UNUSED_PAD src0_sel:WORD_1 src1_sel:DWORD
	v_lshrrev_b32_e32 v86, 16, v69
	v_fma_f16 v83, v22, v68, v2
	v_mul_f16_sdwa v2, v22, v68 dst_sel:DWORD dst_unused:UNUSED_PAD src0_sel:WORD_1 src1_sel:DWORD
	v_fma_f16 v68, v22, v84, -v2
	v_mul_f16_sdwa v2, v22, v86 dst_sel:DWORD dst_unused:UNUSED_PAD src0_sel:WORD_1 src1_sel:DWORD
	v_fma_f16 v84, v22, v69, v2
	v_mul_f16_sdwa v2, v22, v69 dst_sel:DWORD dst_unused:UNUSED_PAD src0_sel:WORD_1 src1_sel:DWORD
	s_waitcnt lgkmcnt(0)
	v_lshrrev_b32_e32 v85, 16, v70
	v_fma_f16 v22, v22, v86, -v2
	v_mul_f16_sdwa v2, v23, v70 dst_sel:DWORD dst_unused:UNUSED_PAD src0_sel:WORD_1 src1_sel:DWORD
	v_fma_f16 v69, v23, v85, -v2
	v_mul_f16_sdwa v2, v23, v85 dst_sel:DWORD dst_unused:UNUSED_PAD src0_sel:WORD_1 src1_sel:DWORD
	v_fma_f16 v66, v24, v66, v3
	v_fma_f16 v70, v23, v70, v2
	ds_read2st64_b32 v[2:3], v1 offset0:240 offset1:248
	v_lshrrev_b32_e32 v4, 16, v71
	v_mul_f16_sdwa v5, v23, v4 dst_sel:DWORD dst_unused:UNUSED_PAD src0_sel:WORD_1 src1_sel:DWORD
	v_fma_f16 v85, v23, v71, v5
	v_mul_f16_sdwa v5, v23, v71 dst_sel:DWORD dst_unused:UNUSED_PAD src0_sel:WORD_1 src1_sel:DWORD
	v_fma_f16 v23, v23, v4, -v5
	s_waitcnt lgkmcnt(0)
	v_lshrrev_b32_e32 v4, 16, v2
	v_mul_f16_sdwa v5, v24, v2 dst_sel:DWORD dst_unused:UNUSED_PAD src0_sel:WORD_1 src1_sel:DWORD
	v_fma_f16 v71, v24, v4, -v5
	v_mul_f16_sdwa v4, v24, v4 dst_sel:DWORD dst_unused:UNUSED_PAD src0_sel:WORD_1 src1_sel:DWORD
	v_fma_f16 v86, v24, v2, v4
	ds_read2st64_b32 v[4:5], v1 offset1:8
	v_lshrrev_b32_e32 v2, 16, v3
	v_mul_f16_sdwa v7, v24, v2 dst_sel:DWORD dst_unused:UNUSED_PAD src0_sel:WORD_1 src1_sel:DWORD
	v_fma_f16 v95, v24, v3, v7
	v_mul_f16_sdwa v3, v24, v3 dst_sel:DWORD dst_unused:UNUSED_PAD src0_sel:WORD_1 src1_sel:DWORD
	v_fma_f16 v24, v24, v2, -v3
	s_waitcnt lgkmcnt(0)
	v_lshrrev_b32_e32 v3, 16, v4
	v_sub_f16_e32 v2, v4, v29
	v_sub_f16_e32 v7, v3, v89
	v_sub_f16_e32 v6, v87, v6
	v_sub_f16_e32 v8, v20, v91
	v_fma_f16 v3, v3, 2.0, -v7
	v_fma_f16 v9, v87, 2.0, -v6
	;; [unrolled: 1-line block ×4, first 2 shown]
	v_sub_f16_e32 v29, v4, v9
	v_sub_f16_e32 v20, v3, v20
	v_fma_f16 v4, v4, 2.0, -v29
	v_fma_f16 v3, v3, 2.0, -v20
	v_add_f16_e32 v87, v2, v8
	v_sub_f16_e32 v89, v7, v6
	v_pack_b32_f16 v4, v4, v3
	v_fma_f16 v2, v2, 2.0, -v87
	v_fma_f16 v3, v7, 2.0, -v89
	v_pack_b32_f16 v91, v2, v3
	ds_read2st64_b32 v[2:3], v1 offset0:16 offset1:24
	ds_read2st64_b32 v[6:7], v1 offset0:32 offset1:40
	;; [unrolled: 1-line block ×3, first 2 shown]
	s_waitcnt lgkmcnt(0)
	s_barrier
	ds_write2st64_b32 v130, v4, v91 offset1:2
	v_pack_b32_f16 v4, v29, v20
	v_pack_b32_f16 v20, v87, v89
	ds_write2st64_b32 v130, v4, v20 offset0:4 offset1:6
	v_lshrrev_b32_e32 v20, 16, v5
	v_sub_f16_e32 v4, v5, v90
	v_sub_f16_e32 v29, v20, v33
	;; [unrolled: 1-line block ×4, first 2 shown]
	v_fma_f16 v5, v5, 2.0, -v4
	v_fma_f16 v20, v20, 2.0, -v29
	;; [unrolled: 1-line block ×4, first 2 shown]
	v_sub_f16_e32 v49, v5, v49
	v_sub_f16_e32 v41, v20, v41
	v_fma_f16 v5, v5, 2.0, -v49
	v_fma_f16 v20, v20, 2.0, -v41
	v_pack_b32_f16 v5, v5, v20
	v_add_f16_e32 v20, v4, v45
	v_sub_f16_e32 v33, v29, v33
	v_fma_f16 v4, v4, 2.0, -v20
	v_fma_f16 v29, v29, 2.0, -v33
	v_pack_b32_f16 v4, v4, v29
	v_lshrrev_b32_e32 v29, 16, v2
	v_pack_b32_f16 v41, v49, v41
	v_pack_b32_f16 v20, v20, v33
	ds_write2st64_b32 v131, v41, v20 offset0:4 offset1:6
	v_sub_f16_e32 v10, v2, v10
	v_sub_f16_e32 v41, v29, v94
	v_sub_f16_e32 v12, v92, v12
	v_sub_f16_e32 v11, v72, v11
	ds_write2st64_b32 v131, v5, v4 offset1:2
	v_lshrrev_b32_e32 v4, 16, v3
	v_fma_f16 v2, v2, 2.0, -v10
	v_fma_f16 v29, v29, 2.0, -v41
	v_fma_f16 v49, v92, 2.0, -v12
	v_fma_f16 v72, v72, 2.0, -v11
	v_sub_f16_e32 v49, v2, v49
	v_sub_f16_e32 v72, v29, v72
	v_add_f16_e32 v11, v10, v11
	v_sub_f16_e32 v12, v41, v12
	v_sub_f16_e32 v75, v3, v75
	;; [unrolled: 1-line block ×5, first 2 shown]
	v_lshrrev_b32_e32 v5, 16, v6
	v_fma_f16 v2, v2, 2.0, -v49
	v_fma_f16 v29, v29, 2.0, -v72
	;; [unrolled: 1-line block ×8, first 2 shown]
	v_sub_f16_e32 v87, v3, v87
	v_sub_f16_e32 v73, v4, v73
	v_add_f16_e32 v13, v75, v13
	v_sub_f16_e32 v76, v74, v76
	v_sub_f16_e32 v64, v6, v64
	;; [unrolled: 1-line block ×5, first 2 shown]
	v_pack_b32_f16 v2, v2, v29
	v_pack_b32_f16 v10, v10, v41
	v_lshrrev_b32_e32 v45, 16, v7
	v_fma_f16 v3, v3, 2.0, -v87
	v_fma_f16 v4, v4, 2.0, -v73
	v_fma_f16 v75, v75, 2.0, -v13
	v_fma_f16 v74, v74, 2.0, -v76
	v_fma_f16 v6, v6, 2.0, -v64
	v_fma_f16 v5, v5, 2.0, -v19
	v_fma_f16 v77, v77, 2.0, -v66
	v_fma_f16 v18, v18, 2.0, -v65
	ds_write2st64_b32 v25, v2, v10 offset1:2
	v_pack_b32_f16 v2, v49, v72
	v_pack_b32_f16 v10, v11, v12
	v_sub_f16_e32 v77, v6, v77
	v_sub_f16_e32 v18, v5, v18
	v_add_f16_e32 v65, v64, v65
	v_sub_f16_e32 v66, v19, v66
	v_sub_f16_e32 v81, v7, v81
	v_sub_f16_e32 v80, v45, v80
	v_sub_f16_e32 v82, v78, v82
	v_sub_f16_e32 v67, v79, v67
	ds_write2st64_b32 v25, v2, v10 offset0:4 offset1:6
	v_pack_b32_f16 v2, v3, v4
	v_pack_b32_f16 v3, v75, v74
	v_lshrrev_b32_e32 v33, 16, v8
	v_fma_f16 v6, v6, 2.0, -v77
	v_fma_f16 v5, v5, 2.0, -v18
	v_fma_f16 v64, v64, 2.0, -v65
	v_fma_f16 v19, v19, 2.0, -v66
	v_fma_f16 v7, v7, 2.0, -v81
	v_fma_f16 v45, v45, 2.0, -v80
	v_fma_f16 v78, v78, 2.0, -v82
	v_fma_f16 v79, v79, 2.0, -v67
	ds_write2st64_b32 v37, v2, v3 offset1:2
	v_pack_b32_f16 v2, v87, v73
	v_pack_b32_f16 v3, v13, v76
	v_sub_f16_e32 v78, v7, v78
	v_sub_f16_e32 v79, v45, v79
	v_add_f16_e32 v67, v81, v67
	v_sub_f16_e32 v82, v80, v82
	v_sub_f16_e32 v70, v8, v70
	v_sub_f16_e32 v69, v33, v69
	v_sub_f16_e32 v86, v83, v86
	v_sub_f16_e32 v71, v68, v71
	ds_write2st64_b32 v37, v2, v3 offset0:4 offset1:6
	;; [unrolled: 23-line block ×3, first 2 shown]
	v_pack_b32_f16 v2, v7, v45
	v_pack_b32_f16 v3, v81, v80
	v_fma_f16 v8, v8, 2.0, -v83
	v_fma_f16 v33, v33, 2.0, -v68
	;; [unrolled: 1-line block ×8, first 2 shown]
	ds_write2st64_b32 v132, v2, v3 offset1:2
	v_pack_b32_f16 v2, v78, v79
	v_pack_b32_f16 v3, v67, v82
	v_sub_f16_e32 v84, v9, v84
	v_sub_f16_e32 v22, v20, v22
	v_add_f16_e32 v24, v85, v24
	v_sub_f16_e32 v88, v23, v88
	ds_write2st64_b32 v132, v2, v3 offset0:4 offset1:6
	v_pack_b32_f16 v2, v8, v33
	v_pack_b32_f16 v3, v70, v69
	v_fma_f16 v9, v9, 2.0, -v84
	v_fma_f16 v20, v20, 2.0, -v22
	v_fma_f16 v85, v85, 2.0, -v24
	v_fma_f16 v23, v23, 2.0, -v88
	ds_write2st64_b32 v133, v2, v3 offset1:2
	v_pack_b32_f16 v2, v83, v68
	v_pack_b32_f16 v3, v71, v86
	ds_write2st64_b32 v133, v2, v3 offset0:4 offset1:6
	v_pack_b32_f16 v2, v9, v20
	v_pack_b32_f16 v3, v85, v23
	ds_write2st64_b32 v134, v2, v3 offset1:2
	v_pack_b32_f16 v2, v84, v22
	v_pack_b32_f16 v3, v24, v88
	ds_write2st64_b32 v134, v2, v3 offset0:4 offset1:6
	s_waitcnt lgkmcnt(0)
	s_barrier
	ds_read2st64_b32 v[2:3], v1 offset0:32 offset1:40
	ds_read2st64_b32 v[6:7], v1 offset0:64 offset1:72
	ds_read2st64_b32 v[4:5], v1 offset1:8
	ds_read2st64_b32 v[8:9], v1 offset0:96 offset1:104
	ds_read2st64_b32 v[10:11], v1 offset0:128 offset1:136
	;; [unrolled: 1-line block ×5, first 2 shown]
	s_waitcnt lgkmcnt(4)
	v_lshrrev_b32_e32 v33, 16, v8
	v_lshrrev_b32_e32 v20, 16, v2
	v_mul_f16_sdwa v93, v14, v20 dst_sel:DWORD dst_unused:UNUSED_PAD src0_sel:WORD_1 src1_sel:DWORD
	v_lshrrev_b32_e32 v76, 16, v3
	v_fma_f16 v93, v14, v2, v93
	v_mul_f16_sdwa v2, v14, v2 dst_sel:DWORD dst_unused:UNUSED_PAD src0_sel:WORD_1 src1_sel:DWORD
	v_fma_f16 v20, v14, v20, -v2
	v_mul_f16_sdwa v2, v14, v76 dst_sel:DWORD dst_unused:UNUSED_PAD src0_sel:WORD_1 src1_sel:DWORD
	v_lshrrev_b32_e32 v29, 16, v6
	v_fma_f16 v94, v14, v3, v2
	v_mul_f16_sdwa v2, v14, v3 dst_sel:DWORD dst_unused:UNUSED_PAD src0_sel:WORD_1 src1_sel:DWORD
	v_mul_f16_sdwa v3, v15, v6 dst_sel:DWORD dst_unused:UNUSED_PAD src0_sel:WORD_1 src1_sel:DWORD
	v_lshrrev_b32_e32 v77, 16, v7
	v_fma_f16 v3, v15, v29, -v3
	v_mul_f16_sdwa v29, v15, v29 dst_sel:DWORD dst_unused:UNUSED_PAD src0_sel:WORD_1 src1_sel:DWORD
	v_fma_f16 v6, v15, v6, v29
	v_fma_f16 v29, v14, v76, -v2
	v_mul_f16_sdwa v2, v15, v77 dst_sel:DWORD dst_unused:UNUSED_PAD src0_sel:WORD_1 src1_sel:DWORD
	v_fma_f16 v76, v15, v7, v2
	v_mul_f16_sdwa v2, v15, v7 dst_sel:DWORD dst_unused:UNUSED_PAD src0_sel:WORD_1 src1_sel:DWORD
	v_mul_f16_sdwa v7, v16, v8 dst_sel:DWORD dst_unused:UNUSED_PAD src0_sel:WORD_1 src1_sel:DWORD
	v_lshrrev_b32_e32 v78, 16, v9
	ds_read2st64_b32 v[24:25], v1 offset0:48 offset1:56
	v_fma_f16 v7, v16, v33, -v7
	v_mul_f16_sdwa v33, v16, v33 dst_sel:DWORD dst_unused:UNUSED_PAD src0_sel:WORD_1 src1_sel:DWORD
	v_fma_f16 v8, v16, v8, v33
	v_fma_f16 v33, v15, v77, -v2
	v_mul_f16_sdwa v2, v16, v78 dst_sel:DWORD dst_unused:UNUSED_PAD src0_sel:WORD_1 src1_sel:DWORD
	s_waitcnt lgkmcnt(4)
	v_lshrrev_b32_e32 v37, 16, v10
	v_fma_f16 v77, v16, v9, v2
	v_mul_f16_sdwa v2, v16, v9 dst_sel:DWORD dst_unused:UNUSED_PAD src0_sel:WORD_1 src1_sel:DWORD
	v_mul_f16_sdwa v9, v17, v10 dst_sel:DWORD dst_unused:UNUSED_PAD src0_sel:WORD_1 src1_sel:DWORD
	v_lshrrev_b32_e32 v79, 16, v11
	v_fma_f16 v9, v17, v37, -v9
	v_mul_f16_sdwa v37, v17, v37 dst_sel:DWORD dst_unused:UNUSED_PAD src0_sel:WORD_1 src1_sel:DWORD
	v_fma_f16 v10, v17, v10, v37
	v_fma_f16 v37, v16, v78, -v2
	v_mul_f16_sdwa v2, v17, v79 dst_sel:DWORD dst_unused:UNUSED_PAD src0_sel:WORD_1 src1_sel:DWORD
	s_waitcnt lgkmcnt(0)
	v_lshrrev_b32_e32 v83, 16, v24
	v_fma_f16 v78, v17, v11, v2
	v_mul_f16_sdwa v2, v17, v11 dst_sel:DWORD dst_unused:UNUSED_PAD src0_sel:WORD_1 src1_sel:DWORD
	v_fma_f16 v11, v17, v79, -v2
	v_mul_f16_sdwa v2, v14, v83 dst_sel:DWORD dst_unused:UNUSED_PAD src0_sel:WORD_1 src1_sel:DWORD
	v_lshrrev_b32_e32 v89, 16, v25
	v_fma_f16 v79, v14, v24, v2
	v_mul_f16_sdwa v2, v14, v24 dst_sel:DWORD dst_unused:UNUSED_PAD src0_sel:WORD_1 src1_sel:DWORD
	ds_read2st64_b32 v[64:65], v1 offset0:80 offset1:88
	ds_read2st64_b32 v[66:67], v1 offset0:112 offset1:120
	;; [unrolled: 1-line block ×5, first 2 shown]
	v_fma_f16 v24, v14, v83, -v2
	v_mul_f16_sdwa v2, v14, v89 dst_sel:DWORD dst_unused:UNUSED_PAD src0_sel:WORD_1 src1_sel:DWORD
	s_waitcnt lgkmcnt(4)
	v_lshrrev_b32_e32 v84, 16, v64
	v_fma_f16 v83, v14, v25, v2
	v_mul_f16_sdwa v2, v14, v25 dst_sel:DWORD dst_unused:UNUSED_PAD src0_sel:WORD_1 src1_sel:DWORD
	v_mul_f16_sdwa v25, v15, v64 dst_sel:DWORD dst_unused:UNUSED_PAD src0_sel:WORD_1 src1_sel:DWORD
	v_lshrrev_b32_e32 v90, 16, v65
	v_fma_f16 v25, v15, v84, -v25
	v_mul_f16_sdwa v84, v15, v84 dst_sel:DWORD dst_unused:UNUSED_PAD src0_sel:WORD_1 src1_sel:DWORD
	v_fma_f16 v64, v15, v64, v84
	v_fma_f16 v84, v14, v89, -v2
	v_mul_f16_sdwa v2, v15, v90 dst_sel:DWORD dst_unused:UNUSED_PAD src0_sel:WORD_1 src1_sel:DWORD
	s_waitcnt lgkmcnt(3)
	v_lshrrev_b32_e32 v85, 16, v66
	v_lshrrev_b32_e32 v91, 16, v67
	v_fma_f16 v89, v15, v65, v2
	v_mul_f16_sdwa v2, v15, v65 dst_sel:DWORD dst_unused:UNUSED_PAD src0_sel:WORD_1 src1_sel:DWORD
	v_mul_f16_sdwa v14, v16, v66 dst_sel:DWORD dst_unused:UNUSED_PAD src0_sel:WORD_1 src1_sel:DWORD
	v_fma_f16 v65, v16, v85, -v14
	v_mul_f16_sdwa v14, v16, v85 dst_sel:DWORD dst_unused:UNUSED_PAD src0_sel:WORD_1 src1_sel:DWORD
	v_fma_f16 v85, v15, v90, -v2
	v_mul_f16_sdwa v2, v16, v91 dst_sel:DWORD dst_unused:UNUSED_PAD src0_sel:WORD_1 src1_sel:DWORD
	v_lshrrev_b32_e32 v41, 16, v12
	s_waitcnt lgkmcnt(2)
	v_lshrrev_b32_e32 v92, 16, v69
	v_fma_f16 v90, v16, v67, v2
	v_mul_f16_sdwa v2, v16, v67 dst_sel:DWORD dst_unused:UNUSED_PAD src0_sel:WORD_1 src1_sel:DWORD
	v_lshrrev_b32_e32 v86, 16, v68
	v_fma_f16 v66, v16, v66, v14
	v_mul_f16_sdwa v14, v17, v68 dst_sel:DWORD dst_unused:UNUSED_PAD src0_sel:WORD_1 src1_sel:DWORD
	v_fma_f16 v16, v16, v91, -v2
	v_mul_f16_sdwa v2, v17, v92 dst_sel:DWORD dst_unused:UNUSED_PAD src0_sel:WORD_1 src1_sel:DWORD
	v_mul_f16_sdwa v91, v34, v41 dst_sel:DWORD dst_unused:UNUSED_PAD src0_sel:WORD_1 src1_sel:DWORD
	v_lshrrev_b32_e32 v80, 16, v13
	v_fma_f16 v67, v17, v86, -v14
	v_mul_f16_sdwa v14, v17, v86 dst_sel:DWORD dst_unused:UNUSED_PAD src0_sel:WORD_1 src1_sel:DWORD
	v_fma_f16 v86, v17, v69, v2
	v_mul_f16_sdwa v2, v17, v69 dst_sel:DWORD dst_unused:UNUSED_PAD src0_sel:WORD_1 src1_sel:DWORD
	v_fma_f16 v91, v34, v12, v91
	v_mul_f16_sdwa v12, v34, v12 dst_sel:DWORD dst_unused:UNUSED_PAD src0_sel:WORD_1 src1_sel:DWORD
	v_lshrrev_b32_e32 v45, 16, v18
	v_fma_f16 v68, v17, v68, v14
	v_fma_f16 v17, v17, v92, -v2
	v_fma_f16 v12, v34, v41, -v12
	v_mul_f16_sdwa v41, v34, v80 dst_sel:DWORD dst_unused:UNUSED_PAD src0_sel:WORD_1 src1_sel:DWORD
	v_mul_f16_sdwa v92, v35, v18 dst_sel:DWORD dst_unused:UNUSED_PAD src0_sel:WORD_1 src1_sel:DWORD
	v_lshrrev_b32_e32 v81, 16, v19
	v_fma_f16 v41, v34, v13, v41
	v_mul_f16_sdwa v13, v34, v13 dst_sel:DWORD dst_unused:UNUSED_PAD src0_sel:WORD_1 src1_sel:DWORD
	v_fma_f16 v92, v35, v45, -v92
	v_mul_f16_sdwa v45, v35, v45 dst_sel:DWORD dst_unused:UNUSED_PAD src0_sel:WORD_1 src1_sel:DWORD
	v_fma_f16 v18, v35, v18, v45
	v_fma_f16 v45, v34, v80, -v13
	v_mul_f16_sdwa v13, v35, v81 dst_sel:DWORD dst_unused:UNUSED_PAD src0_sel:WORD_1 src1_sel:DWORD
	v_lshrrev_b32_e32 v49, 16, v22
	v_fma_f16 v80, v35, v19, v13
	v_mul_f16_sdwa v13, v35, v19 dst_sel:DWORD dst_unused:UNUSED_PAD src0_sel:WORD_1 src1_sel:DWORD
	v_mul_f16_sdwa v19, v36, v22 dst_sel:DWORD dst_unused:UNUSED_PAD src0_sel:WORD_1 src1_sel:DWORD
	v_lshrrev_b32_e32 v82, 16, v23
	v_fma_f16 v19, v36, v49, -v19
	v_mul_f16_sdwa v49, v36, v49 dst_sel:DWORD dst_unused:UNUSED_PAD src0_sel:WORD_1 src1_sel:DWORD
	v_fma_f16 v22, v36, v22, v49
	v_fma_f16 v49, v35, v81, -v13
	v_mul_f16_sdwa v13, v36, v82 dst_sel:DWORD dst_unused:UNUSED_PAD src0_sel:WORD_1 src1_sel:DWORD
	s_waitcnt lgkmcnt(1)
	v_lshrrev_b32_e32 v87, 16, v70
	ds_read2st64_b32 v[74:75], v1 offset0:240 offset1:248
	v_fma_f16 v81, v36, v23, v13
	v_mul_f16_sdwa v13, v36, v23 dst_sel:DWORD dst_unused:UNUSED_PAD src0_sel:WORD_1 src1_sel:DWORD
	v_fma_f16 v23, v36, v82, -v13
	v_mul_f16_sdwa v13, v34, v87 dst_sel:DWORD dst_unused:UNUSED_PAD src0_sel:WORD_1 src1_sel:DWORD
	v_lshrrev_b32_e32 v2, 16, v71
	v_fma_f16 v82, v34, v70, v13
	v_mul_f16_sdwa v13, v34, v70 dst_sel:DWORD dst_unused:UNUSED_PAD src0_sel:WORD_1 src1_sel:DWORD
	v_fma_f16 v70, v34, v87, -v13
	v_mul_f16_sdwa v13, v34, v2 dst_sel:DWORD dst_unused:UNUSED_PAD src0_sel:WORD_1 src1_sel:DWORD
	s_waitcnt lgkmcnt(1)
	v_lshrrev_b32_e32 v88, 16, v72
	v_lshrrev_b32_e32 v15, 16, v73
	v_fma_f16 v87, v34, v71, v13
	v_mul_f16_sdwa v13, v34, v71 dst_sel:DWORD dst_unused:UNUSED_PAD src0_sel:WORD_1 src1_sel:DWORD
	v_mul_f16_sdwa v71, v35, v72 dst_sel:DWORD dst_unused:UNUSED_PAD src0_sel:WORD_1 src1_sel:DWORD
	s_waitcnt lgkmcnt(0)
	v_lshrrev_b32_e32 v14, 16, v74
	v_fma_f16 v71, v35, v88, -v71
	v_mul_f16_sdwa v88, v35, v88 dst_sel:DWORD dst_unused:UNUSED_PAD src0_sel:WORD_1 src1_sel:DWORD
	v_fma_f16 v34, v34, v2, -v13
	v_mul_f16_sdwa v2, v35, v15 dst_sel:DWORD dst_unused:UNUSED_PAD src0_sel:WORD_1 src1_sel:DWORD
	v_mul_f16_sdwa v13, v36, v74 dst_sel:DWORD dst_unused:UNUSED_PAD src0_sel:WORD_1 src1_sel:DWORD
	v_fma_f16 v72, v35, v72, v88
	v_fma_f16 v88, v35, v73, v2
	v_mul_f16_sdwa v2, v35, v73 dst_sel:DWORD dst_unused:UNUSED_PAD src0_sel:WORD_1 src1_sel:DWORD
	v_fma_f16 v73, v36, v14, -v13
	v_mul_f16_sdwa v13, v36, v14 dst_sel:DWORD dst_unused:UNUSED_PAD src0_sel:WORD_1 src1_sel:DWORD
	v_fma_f16 v74, v36, v74, v13
	v_lshrrev_b32_e32 v13, 16, v4
	v_sub_f16_e32 v9, v13, v9
	v_lshrrev_b32_e32 v69, 16, v75
	v_fma_f16 v14, v13, 2.0, -v9
	v_sub_f16_e32 v13, v6, v18
	v_fma_f16 v35, v35, v15, -v2
	v_mul_f16_sdwa v2, v36, v69 dst_sel:DWORD dst_unused:UNUSED_PAD src0_sel:WORD_1 src1_sel:DWORD
	v_sub_f16_e32 v10, v4, v10
	v_sub_f16_e32 v15, v3, v92
	v_fma_f16 v18, v6, 2.0, -v13
	v_sub_f16_e32 v6, v93, v91
	v_sub_f16_e32 v19, v7, v19
	v_fma_f16 v95, v36, v75, v2
	v_mul_f16_sdwa v2, v36, v75 dst_sel:DWORD dst_unused:UNUSED_PAD src0_sel:WORD_1 src1_sel:DWORD
	v_sub_f16_e32 v12, v20, v12
	v_sub_f16_e32 v22, v8, v22
	v_fma_f16 v75, v7, 2.0, -v19
	v_add_f16_e32 v91, v10, v15
	v_sub_f16_e32 v92, v9, v13
	v_add_f16_e32 v7, v6, v19
	v_fma_f16 v36, v36, v69, -v2
	v_fma_f16 v69, v93, 2.0, -v6
	v_fma_f16 v93, v10, 2.0, -v91
	;; [unrolled: 1-line block ×3, first 2 shown]
	v_sub_f16_e32 v9, v12, v22
	v_fma_f16 v6, v6, 2.0, -v7
	v_fma_f16 v20, v20, 2.0, -v12
	v_fma_f16 v13, v12, 2.0, -v9
	v_fma_f16 v12, v6, s8, v93
	v_fma_f16 v12, v13, s9, v12
	v_fma_f16 v13, v13, s8, v124
	v_fma_f16 v3, v3, 2.0, -v15
	v_fma_f16 v8, v8, 2.0, -v22
	v_fma_f16 v13, v6, s8, v13
	v_fma_f16 v6, v7, s9, v91
	v_fma_f16 v4, v4, 2.0, -v10
	v_fma_f16 v6, v9, s9, v6
	v_fma_f16 v9, v9, s9, v92
	v_sub_f16_e32 v18, v4, v18
	v_sub_f16_e32 v19, v14, v3
	;; [unrolled: 1-line block ×4, first 2 shown]
	v_fma_f16 v7, v7, s8, v9
	v_lshrrev_b32_e32 v9, 16, v5
	v_fma_f16 v3, v4, 2.0, -v18
	v_fma_f16 v4, v14, 2.0, -v19
	;; [unrolled: 1-line block ×4, first 2 shown]
	v_sub_f16_e32 v14, v3, v8
	v_sub_f16_e32 v15, v4, v10
	;; [unrolled: 1-line block ×4, first 2 shown]
	v_fma_f16 v20, v5, 2.0, -v8
	v_fma_f16 v69, v9, 2.0, -v10
	v_sub_f16_e32 v5, v76, v80
	v_sub_f16_e32 v9, v33, v49
	;; [unrolled: 1-line block ×4, first 2 shown]
	v_fma_f16 v49, v76, 2.0, -v5
	v_sub_f16_e32 v41, v29, v45
	v_sub_f16_e32 v76, v77, v81
	v_add_f16_e32 v78, v8, v9
	v_sub_f16_e32 v80, v10, v5
	v_add_f16_e32 v5, v11, v23
	v_fma_f16 v33, v33, 2.0, -v9
	v_fma_f16 v37, v37, 2.0, -v23
	;; [unrolled: 1-line block ×3, first 2 shown]
	v_sub_f16_e32 v23, v41, v76
	v_fma_f16 v9, v11, 2.0, -v5
	v_fma_f16 v45, v94, 2.0, -v11
	;; [unrolled: 1-line block ×4, first 2 shown]
	v_fma_f16 v8, v9, s8, v81
	v_fma_f16 v8, v10, s9, v8
	;; [unrolled: 1-line block ×3, first 2 shown]
	v_fma_f16 v3, v3, 2.0, -v14
	v_fma_f16 v4, v4, 2.0, -v15
	v_fma_f16 v10, v9, s8, v10
	v_fma_f16 v9, v5, s9, v78
	;; [unrolled: 1-line block ×5, first 2 shown]
	v_pack_b32_f16 v23, v3, v4
	ds_read2st64_b32 v[4:5], v1 offset0:16 offset1:24
	v_fma_f16 v29, v29, 2.0, -v41
	v_fma_f16 v77, v77, 2.0, -v76
	v_fma_f16 v41, v93, 2.0, -v12
	v_fma_f16 v76, v124, 2.0, -v13
	v_pack_b32_f16 v41, v41, v76
	s_waitcnt lgkmcnt(0)
	v_lshrrev_b32_e32 v76, 16, v4
	v_sub_f16_e32 v67, v76, v67
	v_sub_f16_e32 v72, v64, v72
	;; [unrolled: 1-line block ×4, first 2 shown]
	v_fma_f16 v64, v64, 2.0, -v72
	v_sub_f16_e32 v82, v79, v82
	v_sub_f16_e32 v73, v65, v73
	;; [unrolled: 1-line block ×3, first 2 shown]
	v_fma_f16 v76, v76, 2.0, -v67
	v_fma_f16 v25, v25, 2.0, -v71
	v_sub_f16_e32 v70, v24, v70
	v_sub_f16_e32 v74, v66, v74
	v_add_f16_e32 v71, v68, v71
	s_barrier
	ds_write2st64_b32 v1, v23, v41 offset1:8
	v_fma_f16 v41, v67, 2.0, -v72
	v_add_f16_e32 v67, v82, v73
	v_fma_f16 v66, v66, 2.0, -v74
	v_fma_f16 v65, v65, 2.0, -v73
	;; [unrolled: 1-line block ×3, first 2 shown]
	v_sub_f16_e32 v73, v70, v74
	v_fma_f16 v74, v82, 2.0, -v67
	v_fma_f16 v79, v79, 2.0, -v82
	v_fma_f16 v24, v24, 2.0, -v70
	v_fma_f16 v70, v70, 2.0, -v73
	v_fma_f16 v82, v74, s8, v23
	v_sub_f16_e32 v49, v20, v49
	v_sub_f16_e32 v33, v69, v33
	;; [unrolled: 1-line block ×4, first 2 shown]
	v_fma_f16 v82, v70, s9, v82
	v_fma_f16 v70, v70, s8, v41
	v_add_f16_e32 v75, v18, v75
	v_sub_f16_e32 v22, v19, v22
	v_fma_f16 v20, v20, 2.0, -v49
	v_fma_f16 v69, v69, 2.0, -v33
	;; [unrolled: 1-line block ×4, first 2 shown]
	v_fma_f16 v70, v74, s8, v70
	v_fma_f16 v74, v67, s9, v71
	v_fma_f16 v18, v18, 2.0, -v75
	v_fma_f16 v19, v19, 2.0, -v22
	v_sub_f16_e32 v45, v20, v45
	v_sub_f16_e32 v29, v69, v29
	v_pack_b32_f16 v14, v14, v15
	v_pack_b32_f16 v12, v12, v13
	v_fma_f16 v74, v73, s9, v74
	v_fma_f16 v73, v73, s9, v72
	v_fma_f16 v68, v4, 2.0, -v68
	v_sub_f16_e32 v4, v5, v86
	v_sub_f16_e32 v35, v85, v35
	v_pack_b32_f16 v18, v18, v19
	v_fma_f16 v19, v91, 2.0, -v6
	v_fma_f16 v91, v92, 2.0, -v7
	;; [unrolled: 1-line block ×6, first 2 shown]
	v_add_f16_e32 v37, v49, v37
	v_sub_f16_e32 v77, v33, v77
	ds_write2st64_b32 v1, v14, v12 offset0:32 offset1:40
	v_pack_b32_f16 v12, v75, v22
	v_pack_b32_f16 v6, v6, v7
	v_fma_f16 v67, v67, s8, v73
	v_lshrrev_b32_e32 v73, 16, v5
	v_fma_f16 v86, v5, 2.0, -v4
	v_sub_f16_e32 v5, v89, v88
	v_fma_f16 v85, v85, 2.0, -v35
	v_sub_f16_e32 v87, v83, v87
	v_sub_f16_e32 v36, v16, v36
	v_add_f16_e32 v35, v4, v35
	v_fma_f16 v49, v49, 2.0, -v37
	v_fma_f16 v33, v33, 2.0, -v77
	;; [unrolled: 1-line block ×4, first 2 shown]
	v_sub_f16_e32 v64, v68, v64
	v_sub_f16_e32 v25, v76, v25
	;; [unrolled: 1-line block ×4, first 2 shown]
	ds_write2st64_b32 v1, v12, v6 offset0:48 offset1:56
	v_pack_b32_f16 v6, v20, v69
	v_pack_b32_f16 v7, v81, v92
	v_sub_f16_e32 v17, v73, v17
	v_fma_f16 v88, v89, 2.0, -v5
	v_sub_f16_e32 v34, v84, v34
	v_sub_f16_e32 v89, v90, v95
	v_fma_f16 v95, v4, 2.0, -v35
	v_add_f16_e32 v4, v87, v36
	v_fma_f16 v68, v68, 2.0, -v64
	v_fma_f16 v76, v76, 2.0, -v25
	;; [unrolled: 1-line block ×4, first 2 shown]
	ds_write2st64_b32 v1, v6, v7 offset0:64 offset1:72
	v_pack_b32_f16 v6, v49, v33
	v_pack_b32_f16 v7, v78, v80
	v_fma_f16 v16, v16, 2.0, -v36
	v_sub_f16_e32 v93, v17, v5
	v_sub_f16_e32 v5, v34, v89
	v_fma_f16 v36, v87, 2.0, -v4
	v_sub_f16_e32 v79, v68, v79
	v_sub_f16_e32 v24, v76, v24
	ds_write2st64_b32 v1, v6, v7 offset0:80 offset1:88
	v_pack_b32_f16 v6, v45, v29
	v_pack_b32_f16 v7, v8, v10
	v_fma_f16 v73, v73, 2.0, -v17
	v_fma_f16 v83, v83, 2.0, -v87
	;; [unrolled: 1-line block ×6, first 2 shown]
	v_fma_f16 v87, v36, s8, v95
	v_fma_f16 v68, v68, 2.0, -v79
	v_fma_f16 v76, v76, 2.0, -v24
	;; [unrolled: 1-line block ×4, first 2 shown]
	v_add_f16_e32 v65, v64, v65
	v_sub_f16_e32 v66, v25, v66
	ds_write2st64_b32 v1, v6, v7 offset0:96 offset1:104
	v_pack_b32_f16 v6, v37, v77
	v_pack_b32_f16 v7, v9, v11
	v_fma_f16 v87, v34, s9, v87
	v_fma_f16 v34, v34, s8, v17
	v_fma_f16 v64, v64, 2.0, -v65
	v_fma_f16 v25, v25, 2.0, -v66
	;; [unrolled: 1-line block ×4, first 2 shown]
	v_sub_f16_e32 v88, v86, v88
	v_sub_f16_e32 v85, v73, v85
	;; [unrolled: 1-line block ×4, first 2 shown]
	ds_write2st64_b32 v1, v6, v7 offset0:112 offset1:120
	v_pack_b32_f16 v6, v68, v76
	v_pack_b32_f16 v7, v23, v41
	v_fma_f16 v34, v36, s8, v34
	v_fma_f16 v36, v4, s9, v35
	v_fma_f16 v86, v86, 2.0, -v88
	v_fma_f16 v73, v73, 2.0, -v85
	;; [unrolled: 1-line block ×4, first 2 shown]
	ds_write2st64_b32 v1, v6, v7 offset0:128 offset1:136
	v_pack_b32_f16 v6, v64, v25
	v_pack_b32_f16 v7, v71, v72
	v_fma_f16 v36, v5, s9, v36
	v_fma_f16 v5, v5, s9, v93
	v_sub_f16_e32 v83, v86, v83
	v_sub_f16_e32 v84, v73, v84
	ds_write2st64_b32 v1, v6, v7 offset0:144 offset1:152
	v_pack_b32_f16 v6, v79, v24
	v_pack_b32_f16 v7, v82, v70
	v_fma_f16 v89, v4, s8, v5
	v_fma_f16 v86, v86, 2.0, -v83
	v_fma_f16 v73, v73, 2.0, -v84
	;; [unrolled: 1-line block ×4, first 2 shown]
	v_add_f16_e32 v16, v88, v16
	v_sub_f16_e32 v90, v85, v90
	ds_write2st64_b32 v1, v6, v7 offset0:160 offset1:168
	v_pack_b32_f16 v6, v65, v66
	v_pack_b32_f16 v7, v74, v67
	v_fma_f16 v88, v88, 2.0, -v16
	v_fma_f16 v85, v85, 2.0, -v90
	v_fma_f16 v35, v35, 2.0, -v36
	v_fma_f16 v93, v93, 2.0, -v89
	ds_write2st64_b32 v1, v6, v7 offset0:176 offset1:184
	v_pack_b32_f16 v6, v86, v73
	v_pack_b32_f16 v7, v94, v17
	ds_write2st64_b32 v1, v6, v7 offset0:192 offset1:200
	v_pack_b32_f16 v6, v88, v85
	v_pack_b32_f16 v7, v35, v93
	;; [unrolled: 3-line block ×3, first 2 shown]
	v_pack_b32_f16 v19, v19, v91
	ds_write2st64_b32 v1, v6, v7 offset0:224 offset1:232
	v_pack_b32_f16 v6, v16, v90
	v_pack_b32_f16 v7, v36, v89
	ds_write2st64_b32 v1, v18, v19 offset0:16 offset1:24
	ds_write2st64_b32 v1, v6, v7 offset0:240 offset1:248
	s_waitcnt lgkmcnt(0)
	s_barrier
	ds_read2st64_b32 v[12:13], v1 offset1:8
	ds_read2st64_b32 v[14:15], v1 offset0:64 offset1:72
	ds_read2st64_b32 v[16:17], v1 offset0:128 offset1:136
	;; [unrolled: 1-line block ×11, first 2 shown]
	s_waitcnt lgkmcnt(10)
	v_lshrrev_b32_e32 v7, 16, v14
	v_mul_f16_sdwa v90, v30, v7 dst_sel:DWORD dst_unused:UNUSED_PAD src0_sel:WORD_1 src1_sel:DWORD
	s_waitcnt lgkmcnt(9)
	v_lshrrev_b32_e32 v20, 16, v16
	v_fma_f16 v90, v30, v14, v90
	v_mul_f16_sdwa v14, v30, v14 dst_sel:DWORD dst_unused:UNUSED_PAD src0_sel:WORD_1 src1_sel:DWORD
	v_fma_f16 v7, v30, v7, -v14
	v_mul_f16_sdwa v14, v31, v20 dst_sel:DWORD dst_unused:UNUSED_PAD src0_sel:WORD_1 src1_sel:DWORD
	v_fma_f16 v91, v31, v16, v14
	v_mul_f16_sdwa v14, v31, v16 dst_sel:DWORD dst_unused:UNUSED_PAD src0_sel:WORD_1 src1_sel:DWORD
	s_waitcnt lgkmcnt(8)
	v_lshrrev_b32_e32 v29, 16, v18
	v_fma_f16 v16, v31, v20, -v14
	v_mul_f16_sdwa v14, v32, v18 dst_sel:DWORD dst_unused:UNUSED_PAD src0_sel:WORD_1 src1_sel:DWORD
	v_lshrrev_b32_e32 v41, 16, v15
	v_fma_f16 v20, v32, v29, -v14
	v_mul_f16_sdwa v14, v32, v29 dst_sel:DWORD dst_unused:UNUSED_PAD src0_sel:WORD_1 src1_sel:DWORD
	v_fma_f16 v18, v32, v18, v14
	v_mul_f16_sdwa v14, v26, v41 dst_sel:DWORD dst_unused:UNUSED_PAD src0_sel:WORD_1 src1_sel:DWORD
	v_lshrrev_b32_e32 v45, 16, v17
	v_fma_f16 v29, v26, v15, v14
	v_mul_f16_sdwa v14, v26, v15 dst_sel:DWORD dst_unused:UNUSED_PAD src0_sel:WORD_1 src1_sel:DWORD
	v_fma_f16 v26, v26, v41, -v14
	v_mul_f16_sdwa v14, v27, v45 dst_sel:DWORD dst_unused:UNUSED_PAD src0_sel:WORD_1 src1_sel:DWORD
	s_waitcnt lgkmcnt(6)
	v_lshrrev_b32_e32 v73, 16, v24
	v_fma_f16 v32, v27, v17, v14
	v_mul_f16_sdwa v17, v27, v17 dst_sel:DWORD dst_unused:UNUSED_PAD src0_sel:WORD_1 src1_sel:DWORD
	v_fma_f16 v17, v27, v45, -v17
	v_mul_f16_sdwa v45, v42, v73 dst_sel:DWORD dst_unused:UNUSED_PAD src0_sel:WORD_1 src1_sel:DWORD
	v_lshrrev_b32_e32 v77, 16, v25
	v_fma_f16 v45, v42, v24, v45
	v_mul_f16_sdwa v24, v42, v24 dst_sel:DWORD dst_unused:UNUSED_PAD src0_sel:WORD_1 src1_sel:DWORD
	v_fma_f16 v24, v42, v73, -v24
	v_mul_f16_sdwa v73, v38, v77 dst_sel:DWORD dst_unused:UNUSED_PAD src0_sel:WORD_1 src1_sel:DWORD
	s_waitcnt lgkmcnt(5)
	v_lshrrev_b32_e32 v78, 16, v35
	v_fma_f16 v73, v38, v25, v73
	v_mul_f16_sdwa v25, v38, v25 dst_sel:DWORD dst_unused:UNUSED_PAD src0_sel:WORD_1 src1_sel:DWORD
	v_fma_f16 v25, v38, v77, -v25
	v_mul_f16_sdwa v38, v39, v78 dst_sel:DWORD dst_unused:UNUSED_PAD src0_sel:WORD_1 src1_sel:DWORD
	s_waitcnt lgkmcnt(4)
	;; [unrolled: 6-line block ×5, first 2 shown]
	v_lshrrev_b32_e32 v83, 16, v68
	v_fma_f16 v64, v51, v66, v64
	v_mul_f16_sdwa v66, v51, v66 dst_sel:DWORD dst_unused:UNUSED_PAD src0_sel:WORD_1 src1_sel:DWORD
	v_fma_f16 v51, v51, v82, -v66
	v_mul_f16_sdwa v66, v52, v83 dst_sel:DWORD dst_unused:UNUSED_PAD src0_sel:WORD_1 src1_sel:DWORD
	v_lshrrev_b32_e32 v85, 16, v65
	v_fma_f16 v66, v52, v68, v66
	v_mul_f16_sdwa v68, v52, v68 dst_sel:DWORD dst_unused:UNUSED_PAD src0_sel:WORD_1 src1_sel:DWORD
	ds_read2st64_b32 v[8:9], v1 offset0:48 offset1:56
	ds_read2st64_b32 v[70:71], v1 offset0:112 offset1:120
	v_fma_f16 v52, v52, v83, -v68
	v_mul_f16_sdwa v68, v46, v85 dst_sel:DWORD dst_unused:UNUSED_PAD src0_sel:WORD_1 src1_sel:DWORD
	v_lshrrev_b32_e32 v86, 16, v67
	v_fma_f16 v68, v46, v65, v68
	v_mul_f16_sdwa v65, v46, v65 dst_sel:DWORD dst_unused:UNUSED_PAD src0_sel:WORD_1 src1_sel:DWORD
	ds_read2st64_b32 v[30:31], v1 offset0:176 offset1:184
	v_fma_f16 v46, v46, v85, -v65
	v_mul_f16_sdwa v65, v47, v86 dst_sel:DWORD dst_unused:UNUSED_PAD src0_sel:WORD_1 src1_sel:DWORD
	v_lshrrev_b32_e32 v87, 16, v69
	v_fma_f16 v65, v47, v67, v65
	v_mul_f16_sdwa v67, v47, v67 dst_sel:DWORD dst_unused:UNUSED_PAD src0_sel:WORD_1 src1_sel:DWORD
	ds_read2st64_b32 v[14:15], v1 offset0:240 offset1:248
	v_fma_f16 v47, v47, v86, -v67
	v_mul_f16_sdwa v67, v48, v87 dst_sel:DWORD dst_unused:UNUSED_PAD src0_sel:WORD_1 src1_sel:DWORD
	s_waitcnt lgkmcnt(2)
	v_lshrrev_b32_e32 v89, 16, v70
	v_fma_f16 v67, v48, v69, v67
	v_mul_f16_sdwa v69, v48, v69 dst_sel:DWORD dst_unused:UNUSED_PAD src0_sel:WORD_1 src1_sel:DWORD
	v_lshrrev_b32_e32 v49, 16, v19
	v_fma_f16 v48, v48, v87, -v69
	v_mul_f16_sdwa v69, v58, v89 dst_sel:DWORD dst_unused:UNUSED_PAD src0_sel:WORD_1 src1_sel:DWORD
	v_mul_f16_sdwa v27, v28, v49 dst_sel:DWORD dst_unused:UNUSED_PAD src0_sel:WORD_1 src1_sel:DWORD
	s_waitcnt lgkmcnt(1)
	v_lshrrev_b32_e32 v41, 16, v30
	v_fma_f16 v69, v58, v70, v69
	v_mul_f16_sdwa v70, v58, v70 dst_sel:DWORD dst_unused:UNUSED_PAD src0_sel:WORD_1 src1_sel:DWORD
	v_lshrrev_b32_e32 v74, 16, v34
	v_fma_f16 v27, v28, v19, v27
	v_mul_f16_sdwa v19, v28, v19 dst_sel:DWORD dst_unused:UNUSED_PAD src0_sel:WORD_1 src1_sel:DWORD
	v_fma_f16 v58, v58, v89, -v70
	v_mul_f16_sdwa v70, v59, v41 dst_sel:DWORD dst_unused:UNUSED_PAD src0_sel:WORD_1 src1_sel:DWORD
	v_lshrrev_b32_e32 v75, 16, v36
	v_fma_f16 v19, v28, v49, -v19
	s_waitcnt lgkmcnt(0)
	v_lshrrev_b32_e32 v28, 16, v14
	v_mul_f16_sdwa v42, v43, v74 dst_sel:DWORD dst_unused:UNUSED_PAD src0_sel:WORD_1 src1_sel:DWORD
	v_fma_f16 v70, v59, v30, v70
	v_mul_f16_sdwa v30, v59, v30 dst_sel:DWORD dst_unused:UNUSED_PAD src0_sel:WORD_1 src1_sel:DWORD
	v_fma_f16 v42, v43, v34, v42
	v_mul_f16_sdwa v34, v43, v34 dst_sel:DWORD dst_unused:UNUSED_PAD src0_sel:WORD_1 src1_sel:DWORD
	v_mul_f16_sdwa v49, v44, v75 dst_sel:DWORD dst_unused:UNUSED_PAD src0_sel:WORD_1 src1_sel:DWORD
	v_fma_f16 v30, v59, v41, -v30
	v_mul_f16_sdwa v41, v60, v28 dst_sel:DWORD dst_unused:UNUSED_PAD src0_sel:WORD_1 src1_sel:DWORD
	v_fma_f16 v34, v43, v74, -v34
	v_mul_f16_sdwa v43, v44, v36 dst_sel:DWORD dst_unused:UNUSED_PAD src0_sel:WORD_1 src1_sel:DWORD
	v_fma_f16 v36, v44, v36, v49
	v_lshrrev_b32_e32 v49, 16, v71
	v_fma_f16 v41, v60, v14, v41
	v_mul_f16_sdwa v14, v60, v14 dst_sel:DWORD dst_unused:UNUSED_PAD src0_sel:WORD_1 src1_sel:DWORD
	v_lshrrev_b32_e32 v74, 16, v31
	v_fma_f16 v14, v60, v28, -v14
	v_mul_f16_sdwa v28, v54, v49 dst_sel:DWORD dst_unused:UNUSED_PAD src0_sel:WORD_1 src1_sel:DWORD
	v_mul_f16_sdwa v59, v54, v71 dst_sel:DWORD dst_unused:UNUSED_PAD src0_sel:WORD_1 src1_sel:DWORD
	v_fma_f16 v28, v54, v71, v28
	v_fma_f16 v49, v54, v49, -v59
	v_mul_f16_sdwa v54, v55, v74 dst_sel:DWORD dst_unused:UNUSED_PAD src0_sel:WORD_1 src1_sel:DWORD
	v_fma_f16 v43, v44, v75, -v43
	v_lshrrev_b32_e32 v75, 16, v15
	v_fma_f16 v54, v55, v31, v54
	v_mul_f16_sdwa v31, v55, v31 dst_sel:DWORD dst_unused:UNUSED_PAD src0_sel:WORD_1 src1_sel:DWORD
	v_mov_b32_e32 v2, s0
	v_mov_b32_e32 v3, s1
	v_mad_u64_u32 v[4:5], s[0:1], s6, v62, 0
	v_fma_f16 v31, v55, v74, -v31
	v_mul_f16_sdwa v55, v56, v75 dst_sel:DWORD dst_unused:UNUSED_PAD src0_sel:WORD_1 src1_sel:DWORD
	v_mov_b32_e32 v6, v5
	v_lshrrev_b32_e32 v5, 16, v12
	v_lshrrev_b32_e32 v33, 16, v13
	v_fma_f16 v55, v56, v15, v55
	v_mul_f16_sdwa v15, v56, v15 dst_sel:DWORD dst_unused:UNUSED_PAD src0_sel:WORD_1 src1_sel:DWORD
	v_fma_f16 v15, v56, v75, -v15
	v_sub_f16_e32 v56, v12, v91
	v_sub_f16_e32 v16, v5, v16
	;; [unrolled: 1-line block ×8, first 2 shown]
	v_fma_f16 v12, v12, 2.0, -v56
	v_fma_f16 v5, v5, 2.0, -v16
	;; [unrolled: 1-line block ×8, first 2 shown]
	v_sub_f16_e32 v59, v12, v59
	v_sub_f16_e32 v7, v5, v7
	;; [unrolled: 1-line block ×4, first 2 shown]
	v_lshrrev_b32_e32 v72, 16, v22
	v_lshrrev_b32_e32 v76, 16, v23
	v_fma_f16 v12, v12, 2.0, -v59
	v_fma_f16 v5, v5, 2.0, -v7
	v_add_f16_e32 v20, v56, v20
	v_sub_f16_e32 v18, v16, v18
	v_fma_f16 v13, v13, 2.0, -v29
	v_fma_f16 v33, v33, 2.0, -v26
	v_add_f16_e32 v19, v32, v19
	v_sub_f16_e32 v27, v17, v27
	v_fma_f16 v56, v56, 2.0, -v20
	v_fma_f16 v16, v16, 2.0, -v18
	;; [unrolled: 1-line block ×4, first 2 shown]
	v_sub_f16_e32 v42, v22, v42
	v_sub_f16_e32 v34, v72, v34
	;; [unrolled: 1-line block ×8, first 2 shown]
	v_pack_b32_f16 v5, v12, v5
	v_pack_b32_f16 v13, v13, v33
	v_fma_f16 v22, v22, 2.0, -v42
	v_fma_f16 v60, v72, 2.0, -v34
	;; [unrolled: 1-line block ×8, first 2 shown]
	v_pack_b32_f16 v12, v56, v16
	ds_write2st64_b32 v1, v5, v13 offset1:8
	v_pack_b32_f16 v5, v32, v17
	v_sub_f16_e32 v45, v22, v45
	v_sub_f16_e32 v24, v60, v24
	;; [unrolled: 1-line block ×4, first 2 shown]
	v_pack_b32_f16 v7, v59, v7
	ds_write2st64_b32 v1, v12, v5 offset0:64 offset1:72
	v_pack_b32_f16 v5, v29, v26
	v_lshrrev_b32_e32 v80, 16, v10
	v_lshrrev_b32_e32 v84, 16, v11
	v_fma_f16 v22, v22, 2.0, -v45
	v_fma_f16 v60, v60, 2.0, -v24
	v_add_f16_e32 v43, v42, v43
	v_sub_f16_e32 v36, v34, v36
	v_fma_f16 v23, v23, 2.0, -v72
	v_fma_f16 v71, v71, 2.0, -v25
	v_add_f16_e32 v37, v38, v37
	v_sub_f16_e32 v39, v35, v39
	v_pack_b32_f16 v16, v20, v18
	ds_write2st64_b32 v1, v7, v5 offset0:128 offset1:136
	v_pack_b32_f16 v5, v19, v27
	v_fma_f16 v42, v42, 2.0, -v43
	v_fma_f16 v34, v34, 2.0, -v36
	;; [unrolled: 1-line block ×4, first 2 shown]
	v_sub_f16_e32 v64, v10, v64
	v_sub_f16_e32 v51, v80, v51
	;; [unrolled: 1-line block ×8, first 2 shown]
	ds_write2st64_b32 v1, v16, v5 offset0:192 offset1:200
	v_pack_b32_f16 v5, v22, v60
	v_pack_b32_f16 v16, v23, v71
	v_fma_f16 v10, v10, 2.0, -v64
	v_fma_f16 v73, v80, 2.0, -v51
	;; [unrolled: 1-line block ×8, first 2 shown]
	v_pack_b32_f16 v7, v42, v34
	ds_write2st64_b32 v1, v5, v16 offset0:16 offset1:24
	v_pack_b32_f16 v5, v38, v35
	v_sub_f16_e32 v40, v10, v40
	v_sub_f16_e32 v50, v73, v50
	;; [unrolled: 1-line block ×4, first 2 shown]
	v_pack_b32_f16 v12, v45, v24
	ds_write2st64_b32 v1, v7, v5 offset0:80 offset1:88
	v_pack_b32_f16 v5, v72, v25
	v_lshrrev_b32_e32 v88, 16, v8
	v_lshrrev_b32_e32 v44, 16, v9
	v_fma_f16 v10, v10, 2.0, -v40
	v_fma_f16 v73, v73, 2.0, -v50
	v_add_f16_e32 v52, v64, v52
	v_sub_f16_e32 v66, v51, v66
	v_fma_f16 v11, v11, 2.0, -v68
	v_fma_f16 v74, v74, 2.0, -v46
	v_add_f16_e32 v48, v65, v48
	v_sub_f16_e32 v67, v47, v67
	v_pack_b32_f16 v13, v43, v36
	ds_write2st64_b32 v1, v12, v5 offset0:144 offset1:152
	v_pack_b32_f16 v5, v37, v39
	v_fma_f16 v64, v64, 2.0, -v52
	v_fma_f16 v51, v51, 2.0, -v66
	;; [unrolled: 1-line block ×4, first 2 shown]
	v_sub_f16_e32 v70, v8, v70
	v_sub_f16_e32 v30, v88, v30
	v_sub_f16_e32 v41, v69, v41
	v_sub_f16_e32 v14, v58, v14
	v_sub_f16_e32 v54, v9, v54
	v_sub_f16_e32 v31, v44, v31
	v_sub_f16_e32 v55, v28, v55
	v_sub_f16_e32 v15, v49, v15
	ds_write2st64_b32 v1, v13, v5 offset0:208 offset1:216
	v_pack_b32_f16 v5, v10, v73
	v_pack_b32_f16 v11, v11, v74
	v_fma_f16 v8, v8, 2.0, -v70
	v_fma_f16 v75, v88, 2.0, -v30
	;; [unrolled: 1-line block ×8, first 2 shown]
	v_pack_b32_f16 v7, v64, v51
	ds_write2st64_b32 v1, v5, v11 offset0:32 offset1:40
	v_pack_b32_f16 v5, v65, v47
	v_sub_f16_e32 v69, v8, v69
	v_sub_f16_e32 v58, v75, v58
	;; [unrolled: 1-line block ×4, first 2 shown]
	v_pack_b32_f16 v10, v40, v50
	ds_write2st64_b32 v1, v7, v5 offset0:96 offset1:104
	v_pack_b32_f16 v5, v68, v46
	v_fma_f16 v8, v8, 2.0, -v69
	v_fma_f16 v75, v75, 2.0, -v58
	v_add_f16_e32 v14, v70, v14
	v_sub_f16_e32 v41, v30, v41
	v_fma_f16 v9, v9, 2.0, -v28
	v_fma_f16 v44, v44, 2.0, -v49
	v_add_f16_e32 v15, v54, v15
	v_sub_f16_e32 v55, v31, v55
	v_pack_b32_f16 v12, v52, v66
	ds_write2st64_b32 v1, v10, v5 offset0:160 offset1:168
	v_pack_b32_f16 v5, v48, v67
	v_fma_f16 v70, v70, 2.0, -v14
	v_fma_f16 v30, v30, 2.0, -v41
	;; [unrolled: 1-line block ×4, first 2 shown]
	ds_write2st64_b32 v1, v12, v5 offset0:224 offset1:232
	v_pack_b32_f16 v5, v8, v75
	v_pack_b32_f16 v9, v9, v44
	;; [unrolled: 1-line block ×3, first 2 shown]
	ds_write2st64_b32 v1, v5, v9 offset0:48 offset1:56
	v_pack_b32_f16 v5, v54, v31
	v_pack_b32_f16 v8, v69, v58
	ds_write2st64_b32 v1, v7, v5 offset0:112 offset1:120
	v_pack_b32_f16 v5, v28, v49
	v_pack_b32_f16 v10, v14, v41
	ds_write2st64_b32 v1, v8, v5 offset0:176 offset1:184
	v_pack_b32_f16 v5, v15, v55
	ds_write2st64_b32 v1, v10, v5 offset0:240 offset1:248
	s_waitcnt lgkmcnt(0)
	s_barrier
	ds_read2st64_b32 v[8:9], v1 offset1:8
	v_mad_u64_u32 v[6:7], s[0:1], s7, v62, v[6:7]
	v_mov_b32_e32 v5, v6
	v_lshl_add_u64 v[2:3], v[4:5], 2, v[2:3]
	s_waitcnt lgkmcnt(0)
	v_lshrrev_b32_e32 v6, 16, v8
	v_mul_f16_sdwa v7, v105, v6 dst_sel:DWORD dst_unused:UNUSED_PAD src0_sel:WORD_1 src1_sel:DWORD
	v_fma_f16 v7, v105, v8, v7
	v_mul_f16_e32 v12, 0x400, v7
	v_mul_f16_sdwa v7, v105, v8 dst_sel:DWORD dst_unused:UNUSED_PAD src0_sel:WORD_1 src1_sel:DWORD
	v_fma_f16 v6, v105, v6, -v7
	v_mul_f16_sdwa v13, v6, s2 dst_sel:WORD_1 dst_unused:UNUSED_PAD src0_sel:DWORD src1_sel:DWORD
	v_mad_u64_u32 v[6:7], s[0:1], s4, v0, 0
	v_mov_b32_e32 v8, v7
	v_mad_u64_u32 v[10:11], s[0:1], s5, v0, v[8:9]
	v_mov_b32_e32 v7, v10
	ds_read2st64_b32 v[10:11], v1 offset0:32 offset1:40
	v_or_b32_e32 v0, v13, v12
	v_lshl_add_u64 v[2:3], v[6:7], 2, v[2:3]
	global_store_dword v[2:3], v0, off
	s_lshl_b64 s[0:1], s[4:5], 13
	s_waitcnt lgkmcnt(0)
	v_lshrrev_b32_e32 v0, 16, v10
	v_mul_f16_sdwa v4, v103, v0 dst_sel:DWORD dst_unused:UNUSED_PAD src0_sel:WORD_1 src1_sel:DWORD
	v_fma_f16 v4, v103, v10, v4
	v_mul_f16_e32 v6, 0x400, v4
	v_mul_f16_sdwa v4, v103, v10 dst_sel:DWORD dst_unused:UNUSED_PAD src0_sel:WORD_1 src1_sel:DWORD
	v_fma_f16 v0, v103, v0, -v4
	ds_read2st64_b32 v[4:5], v1 offset0:64 offset1:72
	v_mul_f16_sdwa v0, v0, s2 dst_sel:WORD_1 dst_unused:UNUSED_PAD src0_sel:DWORD src1_sel:DWORD
	v_lshl_add_u64 v[2:3], v[2:3], 0, s[0:1]
	v_or_b32_e32 v0, v0, v6
	global_store_dword v[2:3], v0, off
	s_waitcnt lgkmcnt(0)
	v_lshrrev_b32_e32 v0, 16, v4
	v_mul_f16_sdwa v6, v100, v0 dst_sel:DWORD dst_unused:UNUSED_PAD src0_sel:WORD_1 src1_sel:DWORD
	v_fma_f16 v6, v100, v4, v6
	v_mul_f16_e32 v8, 0x400, v6
	ds_read2st64_b32 v[6:7], v1 offset0:96 offset1:104
	v_mul_f16_sdwa v4, v100, v4 dst_sel:DWORD dst_unused:UNUSED_PAD src0_sel:WORD_1 src1_sel:DWORD
	v_fma_f16 v0, v100, v0, -v4
	v_mul_f16_sdwa v0, v0, s2 dst_sel:WORD_1 dst_unused:UNUSED_PAD src0_sel:DWORD src1_sel:DWORD
	v_lshl_add_u64 v[2:3], v[2:3], 0, s[0:1]
	v_or_b32_e32 v0, v0, v8
	global_store_dword v[2:3], v0, off
	s_waitcnt lgkmcnt(0)
	v_lshrrev_b32_e32 v0, 16, v6
	v_mul_f16_sdwa v4, v98, v0 dst_sel:DWORD dst_unused:UNUSED_PAD src0_sel:WORD_1 src1_sel:DWORD
	ds_read2st64_b32 v[12:13], v1 offset0:128 offset1:136
	v_fma_f16 v4, v98, v6, v4
	v_mul_f16_sdwa v6, v98, v6 dst_sel:DWORD dst_unused:UNUSED_PAD src0_sel:WORD_1 src1_sel:DWORD
	v_fma_f16 v0, v98, v0, -v6
	v_mul_f16_e32 v4, 0x400, v4
	v_mul_f16_sdwa v0, v0, s2 dst_sel:WORD_1 dst_unused:UNUSED_PAD src0_sel:DWORD src1_sel:DWORD
	v_lshl_add_u64 v[2:3], v[2:3], 0, s[0:1]
	v_or_b32_e32 v0, v0, v4
	global_store_dword v[2:3], v0, off
	s_waitcnt lgkmcnt(0)
	v_lshrrev_b32_e32 v0, 16, v12
	ds_read2st64_b32 v[14:15], v1 offset0:160 offset1:168
	v_mul_f16_sdwa v4, v96, v0 dst_sel:DWORD dst_unused:UNUSED_PAD src0_sel:WORD_1 src1_sel:DWORD
	v_mul_f16_sdwa v6, v96, v12 dst_sel:DWORD dst_unused:UNUSED_PAD src0_sel:WORD_1 src1_sel:DWORD
	v_fma_f16 v4, v96, v12, v4
	v_fma_f16 v0, v96, v0, -v6
	v_mul_f16_e32 v4, 0x400, v4
	v_mul_f16_sdwa v0, v0, s2 dst_sel:WORD_1 dst_unused:UNUSED_PAD src0_sel:DWORD src1_sel:DWORD
	v_lshl_add_u64 v[2:3], v[2:3], 0, s[0:1]
	v_or_b32_e32 v0, v0, v4
	global_store_dword v[2:3], v0, off
	s_waitcnt lgkmcnt(0)
	v_lshrrev_b32_e32 v0, 16, v14
	ds_read2st64_b32 v[16:17], v1 offset0:192 offset1:200
	v_mul_f16_sdwa v4, v61, v0 dst_sel:DWORD dst_unused:UNUSED_PAD src0_sel:WORD_1 src1_sel:DWORD
	v_mul_f16_sdwa v6, v61, v14 dst_sel:DWORD dst_unused:UNUSED_PAD src0_sel:WORD_1 src1_sel:DWORD
	v_fma_f16 v4, v61, v14, v4
	;; [unrolled: 12-line block ×3, first 2 shown]
	v_fma_f16 v0, v53, v0, -v6
	v_mul_f16_e32 v4, 0x400, v4
	v_mul_f16_sdwa v0, v0, s2 dst_sel:WORD_1 dst_unused:UNUSED_PAD src0_sel:DWORD src1_sel:DWORD
	v_lshl_add_u64 v[2:3], v[2:3], 0, s[0:1]
	v_or_b32_e32 v0, v0, v4
	global_store_dword v[2:3], v0, off
	s_waitcnt lgkmcnt(0)
	v_lshrrev_b32_e32 v0, 16, v18
	v_mul_f16_sdwa v4, v57, v0 dst_sel:DWORD dst_unused:UNUSED_PAD src0_sel:WORD_1 src1_sel:DWORD
	v_mul_f16_sdwa v6, v57, v18 dst_sel:DWORD dst_unused:UNUSED_PAD src0_sel:WORD_1 src1_sel:DWORD
	v_fma_f16 v4, v57, v18, v4
	v_fma_f16 v0, v57, v0, -v6
	v_mul_f16_e32 v4, 0x400, v4
	v_mul_f16_sdwa v0, v0, s2 dst_sel:WORD_1 dst_unused:UNUSED_PAD src0_sel:DWORD src1_sel:DWORD
	v_lshl_add_u64 v[2:3], v[2:3], 0, s[0:1]
	v_or_b32_e32 v0, v0, v4
	global_store_dword v[2:3], v0, off
	v_lshrrev_b32_e32 v0, 16, v9
	v_mul_f16_sdwa v4, v63, v0 dst_sel:DWORD dst_unused:UNUSED_PAD src0_sel:WORD_1 src1_sel:DWORD
	v_mul_f16_sdwa v6, v63, v9 dst_sel:DWORD dst_unused:UNUSED_PAD src0_sel:WORD_1 src1_sel:DWORD
	v_fma_f16 v4, v63, v9, v4
	v_fma_f16 v0, v63, v0, -v6
	v_mul_f16_e32 v4, 0x400, v4
	v_mul_f16_sdwa v0, v0, s2 dst_sel:WORD_1 dst_unused:UNUSED_PAD src0_sel:DWORD src1_sel:DWORD
	v_mad_u64_u32 v[2:3], s[6:7], s4, v21, v[2:3]
	v_or_b32_e32 v0, v0, v4
	v_add_u32_e32 v3, s3, v3
	global_store_dword v[2:3], v0, off
	v_lshrrev_b32_e32 v0, 16, v11
	v_mul_f16_sdwa v4, v101, v0 dst_sel:DWORD dst_unused:UNUSED_PAD src0_sel:WORD_1 src1_sel:DWORD
	v_mul_f16_sdwa v6, v101, v11 dst_sel:DWORD dst_unused:UNUSED_PAD src0_sel:WORD_1 src1_sel:DWORD
	v_fma_f16 v4, v101, v11, v4
	v_fma_f16 v0, v101, v0, -v6
	v_mul_f16_e32 v4, 0x400, v4
	v_mul_f16_sdwa v0, v0, s2 dst_sel:WORD_1 dst_unused:UNUSED_PAD src0_sel:DWORD src1_sel:DWORD
	v_lshl_add_u64 v[2:3], v[2:3], 0, s[0:1]
	v_or_b32_e32 v0, v0, v4
	global_store_dword v[2:3], v0, off
	v_lshrrev_b32_e32 v0, 16, v5
	v_mul_f16_sdwa v4, v102, v0 dst_sel:DWORD dst_unused:UNUSED_PAD src0_sel:WORD_1 src1_sel:DWORD
	v_fma_f16 v4, v102, v5, v4
	v_mul_f16_sdwa v5, v102, v5 dst_sel:DWORD dst_unused:UNUSED_PAD src0_sel:WORD_1 src1_sel:DWORD
	v_fma_f16 v0, v102, v0, -v5
	v_mul_f16_e32 v4, 0x400, v4
	v_mul_f16_sdwa v0, v0, s2 dst_sel:WORD_1 dst_unused:UNUSED_PAD src0_sel:DWORD src1_sel:DWORD
	v_lshl_add_u64 v[2:3], v[2:3], 0, s[0:1]
	v_or_b32_e32 v0, v0, v4
	global_store_dword v[2:3], v0, off
	v_lshrrev_b32_e32 v0, 16, v7
	v_mul_f16_sdwa v4, v99, v0 dst_sel:DWORD dst_unused:UNUSED_PAD src0_sel:WORD_1 src1_sel:DWORD
	v_mul_f16_sdwa v5, v99, v7 dst_sel:DWORD dst_unused:UNUSED_PAD src0_sel:WORD_1 src1_sel:DWORD
	v_fma_f16 v4, v99, v7, v4
	v_fma_f16 v0, v99, v0, -v5
	v_mul_f16_e32 v4, 0x400, v4
	v_mul_f16_sdwa v0, v0, s2 dst_sel:WORD_1 dst_unused:UNUSED_PAD src0_sel:DWORD src1_sel:DWORD
	v_lshl_add_u64 v[2:3], v[2:3], 0, s[0:1]
	v_or_b32_e32 v0, v0, v4
	global_store_dword v[2:3], v0, off
	v_lshrrev_b32_e32 v0, 16, v13
	v_mul_f16_sdwa v4, v97, v0 dst_sel:DWORD dst_unused:UNUSED_PAD src0_sel:WORD_1 src1_sel:DWORD
	v_mul_f16_sdwa v5, v97, v13 dst_sel:DWORD dst_unused:UNUSED_PAD src0_sel:WORD_1 src1_sel:DWORD
	v_fma_f16 v4, v97, v13, v4
	;; [unrolled: 10-line block ×4, first 2 shown]
	v_fma_f16 v0, v106, v0, -v5
	v_mul_f16_e32 v4, 0x400, v4
	v_mul_f16_sdwa v0, v0, s2 dst_sel:WORD_1 dst_unused:UNUSED_PAD src0_sel:DWORD src1_sel:DWORD
	v_lshl_add_u64 v[2:3], v[2:3], 0, s[0:1]
	v_or_b32_e32 v0, v0, v4
	global_store_dword v[2:3], v0, off
	v_lshrrev_b32_e32 v0, 16, v19
	v_mul_f16_sdwa v4, v107, v0 dst_sel:DWORD dst_unused:UNUSED_PAD src0_sel:WORD_1 src1_sel:DWORD
	v_fma_f16 v4, v107, v19, v4
	v_mul_f16_e32 v6, 0x400, v4
	v_mul_f16_sdwa v4, v107, v19 dst_sel:DWORD dst_unused:UNUSED_PAD src0_sel:WORD_1 src1_sel:DWORD
	v_fma_f16 v0, v107, v0, -v4
	ds_read2st64_b32 v[4:5], v1 offset0:16 offset1:24
	v_mul_f16_sdwa v0, v0, s2 dst_sel:WORD_1 dst_unused:UNUSED_PAD src0_sel:DWORD src1_sel:DWORD
	v_lshl_add_u64 v[2:3], v[2:3], 0, s[0:1]
	v_or_b32_e32 v0, v0, v6
	global_store_dword v[2:3], v0, off
	s_waitcnt lgkmcnt(0)
	v_lshrrev_b32_e32 v0, 16, v4
	v_mul_f16_sdwa v6, v112, v0 dst_sel:DWORD dst_unused:UNUSED_PAD src0_sel:WORD_1 src1_sel:DWORD
	v_fma_f16 v6, v112, v4, v6
	v_mul_f16_sdwa v4, v112, v4 dst_sel:DWORD dst_unused:UNUSED_PAD src0_sel:WORD_1 src1_sel:DWORD
	v_fma_f16 v0, v112, v0, -v4
	v_mul_f16_e32 v6, 0x400, v6
	v_mul_f16_sdwa v0, v0, s2 dst_sel:WORD_1 dst_unused:UNUSED_PAD src0_sel:DWORD src1_sel:DWORD
	v_mad_u64_u32 v[2:3], s[6:7], s4, v21, v[2:3]
	v_or_b32_e32 v0, v0, v6
	ds_read2st64_b32 v[6:7], v1 offset0:48 offset1:56
	v_add_u32_e32 v3, s3, v3
	global_store_dword v[2:3], v0, off
	ds_read2st64_b32 v[8:9], v1 offset0:80 offset1:88
	v_lshl_add_u64 v[2:3], v[2:3], 0, s[0:1]
	s_waitcnt lgkmcnt(1)
	v_lshrrev_b32_e32 v0, 16, v6
	v_mul_f16_sdwa v4, v115, v0 dst_sel:DWORD dst_unused:UNUSED_PAD src0_sel:WORD_1 src1_sel:DWORD
	v_fma_f16 v4, v115, v6, v4
	v_mul_f16_sdwa v6, v115, v6 dst_sel:DWORD dst_unused:UNUSED_PAD src0_sel:WORD_1 src1_sel:DWORD
	v_fma_f16 v0, v115, v0, -v6
	v_mul_f16_e32 v4, 0x400, v4
	v_mul_f16_sdwa v0, v0, s2 dst_sel:WORD_1 dst_unused:UNUSED_PAD src0_sel:DWORD src1_sel:DWORD
	ds_read2st64_b32 v[10:11], v1 offset0:112 offset1:120
	v_or_b32_e32 v0, v0, v4
	global_store_dword v[2:3], v0, off
	s_waitcnt lgkmcnt(1)
	v_lshrrev_b32_e32 v0, 16, v8
	v_mul_f16_sdwa v4, v118, v0 dst_sel:DWORD dst_unused:UNUSED_PAD src0_sel:WORD_1 src1_sel:DWORD
	v_mul_f16_sdwa v6, v118, v8 dst_sel:DWORD dst_unused:UNUSED_PAD src0_sel:WORD_1 src1_sel:DWORD
	v_fma_f16 v4, v118, v8, v4
	v_fma_f16 v0, v118, v0, -v6
	v_mul_f16_e32 v4, 0x400, v4
	v_mul_f16_sdwa v0, v0, s2 dst_sel:WORD_1 dst_unused:UNUSED_PAD src0_sel:DWORD src1_sel:DWORD
	v_lshl_add_u64 v[2:3], v[2:3], 0, s[0:1]
	v_or_b32_e32 v0, v0, v4
	global_store_dword v[2:3], v0, off
	s_waitcnt lgkmcnt(0)
	v_lshrrev_b32_e32 v0, 16, v10
	ds_read2st64_b32 v[12:13], v1 offset0:144 offset1:152
	v_mul_f16_sdwa v4, v119, v0 dst_sel:DWORD dst_unused:UNUSED_PAD src0_sel:WORD_1 src1_sel:DWORD
	v_mul_f16_sdwa v6, v119, v10 dst_sel:DWORD dst_unused:UNUSED_PAD src0_sel:WORD_1 src1_sel:DWORD
	v_fma_f16 v4, v119, v10, v4
	v_fma_f16 v0, v119, v0, -v6
	v_mul_f16_e32 v4, 0x400, v4
	v_mul_f16_sdwa v0, v0, s2 dst_sel:WORD_1 dst_unused:UNUSED_PAD src0_sel:DWORD src1_sel:DWORD
	v_lshl_add_u64 v[2:3], v[2:3], 0, s[0:1]
	v_or_b32_e32 v0, v0, v4
	global_store_dword v[2:3], v0, off
	s_waitcnt lgkmcnt(0)
	v_lshrrev_b32_e32 v0, 16, v12
	ds_read2st64_b32 v[14:15], v1 offset0:176 offset1:184
	;; [unrolled: 12-line block ×3, first 2 shown]
	v_mul_f16_sdwa v4, v113, v0 dst_sel:DWORD dst_unused:UNUSED_PAD src0_sel:WORD_1 src1_sel:DWORD
	v_mul_f16_sdwa v6, v113, v14 dst_sel:DWORD dst_unused:UNUSED_PAD src0_sel:WORD_1 src1_sel:DWORD
	v_fma_f16 v4, v113, v14, v4
	v_fma_f16 v0, v113, v0, -v6
	v_mul_f16_e32 v4, 0x400, v4
	v_mul_f16_sdwa v0, v0, s2 dst_sel:WORD_1 dst_unused:UNUSED_PAD src0_sel:DWORD src1_sel:DWORD
	v_lshl_add_u64 v[2:3], v[2:3], 0, s[0:1]
	v_or_b32_e32 v0, v0, v4
	global_store_dword v[2:3], v0, off
	s_waitcnt lgkmcnt(0)
	v_lshrrev_b32_e32 v0, 16, v16
	v_mul_f16_sdwa v6, v108, v16 dst_sel:DWORD dst_unused:UNUSED_PAD src0_sel:WORD_1 src1_sel:DWORD
	v_mul_f16_sdwa v4, v108, v0 dst_sel:DWORD dst_unused:UNUSED_PAD src0_sel:WORD_1 src1_sel:DWORD
	v_fma_f16 v6, v108, v0, -v6
	ds_read2st64_b32 v[0:1], v1 offset0:240 offset1:248
	v_fma_f16 v4, v108, v16, v4
	v_mul_f16_e32 v4, 0x400, v4
	v_mul_f16_sdwa v6, v6, s2 dst_sel:WORD_1 dst_unused:UNUSED_PAD src0_sel:DWORD src1_sel:DWORD
	v_lshl_add_u64 v[2:3], v[2:3], 0, s[0:1]
	v_or_b32_e32 v4, v6, v4
	global_store_dword v[2:3], v4, off
	s_waitcnt lgkmcnt(0)
	v_lshrrev_b32_e32 v4, 16, v0
	v_mul_f16_sdwa v6, v111, v4 dst_sel:DWORD dst_unused:UNUSED_PAD src0_sel:WORD_1 src1_sel:DWORD
	v_fma_f16 v6, v111, v0, v6
	v_mul_f16_sdwa v0, v111, v0 dst_sel:DWORD dst_unused:UNUSED_PAD src0_sel:WORD_1 src1_sel:DWORD
	v_fma_f16 v0, v111, v4, -v0
	v_mul_f16_e32 v6, 0x400, v6
	v_mul_f16_sdwa v0, v0, s2 dst_sel:WORD_1 dst_unused:UNUSED_PAD src0_sel:DWORD src1_sel:DWORD
	v_lshl_add_u64 v[2:3], v[2:3], 0, s[0:1]
	v_or_b32_e32 v0, v0, v6
	global_store_dword v[2:3], v0, off
	v_lshrrev_b32_e32 v0, 16, v5
	v_mul_f16_sdwa v4, v109, v0 dst_sel:DWORD dst_unused:UNUSED_PAD src0_sel:WORD_1 src1_sel:DWORD
	v_fma_f16 v4, v109, v5, v4
	v_mul_f16_sdwa v5, v109, v5 dst_sel:DWORD dst_unused:UNUSED_PAD src0_sel:WORD_1 src1_sel:DWORD
	v_fma_f16 v0, v109, v0, -v5
	v_mul_f16_e32 v4, 0x400, v4
	v_mul_f16_sdwa v0, v0, s2 dst_sel:WORD_1 dst_unused:UNUSED_PAD src0_sel:DWORD src1_sel:DWORD
	v_mad_u64_u32 v[2:3], s[4:5], s4, v21, v[2:3]
	v_or_b32_e32 v0, v0, v4
	v_add_u32_e32 v3, s3, v3
	global_store_dword v[2:3], v0, off
	v_lshrrev_b32_e32 v0, 16, v7
	v_mul_f16_sdwa v4, v110, v0 dst_sel:DWORD dst_unused:UNUSED_PAD src0_sel:WORD_1 src1_sel:DWORD
	v_mul_f16_sdwa v5, v110, v7 dst_sel:DWORD dst_unused:UNUSED_PAD src0_sel:WORD_1 src1_sel:DWORD
	v_fma_f16 v4, v110, v7, v4
	v_fma_f16 v0, v110, v0, -v5
	v_mul_f16_e32 v4, 0x400, v4
	v_mul_f16_sdwa v0, v0, s2 dst_sel:WORD_1 dst_unused:UNUSED_PAD src0_sel:DWORD src1_sel:DWORD
	v_lshl_add_u64 v[2:3], v[2:3], 0, s[0:1]
	v_or_b32_e32 v0, v0, v4
	global_store_dword v[2:3], v0, off
	v_lshrrev_b32_e32 v0, 16, v9
	v_mul_f16_sdwa v4, v114, v0 dst_sel:DWORD dst_unused:UNUSED_PAD src0_sel:WORD_1 src1_sel:DWORD
	v_mul_f16_sdwa v5, v114, v9 dst_sel:DWORD dst_unused:UNUSED_PAD src0_sel:WORD_1 src1_sel:DWORD
	v_fma_f16 v4, v114, v9, v4
	v_fma_f16 v0, v114, v0, -v5
	v_mul_f16_e32 v4, 0x400, v4
	v_mul_f16_sdwa v0, v0, s2 dst_sel:WORD_1 dst_unused:UNUSED_PAD src0_sel:DWORD src1_sel:DWORD
	v_lshl_add_u64 v[2:3], v[2:3], 0, s[0:1]
	v_or_b32_e32 v0, v0, v4
	;; [unrolled: 10-line block ×6, first 2 shown]
	global_store_dword v[2:3], v0, off
	v_lshrrev_b32_e32 v0, 16, v1
	v_mul_f16_sdwa v4, v123, v0 dst_sel:DWORD dst_unused:UNUSED_PAD src0_sel:WORD_1 src1_sel:DWORD
	v_fma_f16 v4, v123, v1, v4
	v_mul_f16_sdwa v1, v123, v1 dst_sel:DWORD dst_unused:UNUSED_PAD src0_sel:WORD_1 src1_sel:DWORD
	v_fma_f16 v0, v123, v0, -v1
	v_mul_f16_e32 v4, 0x400, v4
	v_mul_f16_sdwa v0, v0, s2 dst_sel:WORD_1 dst_unused:UNUSED_PAD src0_sel:DWORD src1_sel:DWORD
	s_nop 0
	v_or_b32_e32 v4, v0, v4
	v_lshl_add_u64 v[0:1], v[2:3], 0, s[0:1]
	global_store_dword v[0:1], v4, off
.LBB0_2:
	s_endpgm
	.section	.rodata,"a",@progbits
	.p2align	6, 0x0
	.amdhsa_kernel bluestein_single_back_len16384_dim1_half_op_CI_CI
		.amdhsa_group_segment_fixed_size 65536
		.amdhsa_private_segment_fixed_size 0
		.amdhsa_kernarg_size 104
		.amdhsa_user_sgpr_count 2
		.amdhsa_user_sgpr_dispatch_ptr 0
		.amdhsa_user_sgpr_queue_ptr 0
		.amdhsa_user_sgpr_kernarg_segment_ptr 1
		.amdhsa_user_sgpr_dispatch_id 0
		.amdhsa_user_sgpr_kernarg_preload_length 0
		.amdhsa_user_sgpr_kernarg_preload_offset 0
		.amdhsa_user_sgpr_private_segment_size 0
		.amdhsa_uses_dynamic_stack 0
		.amdhsa_enable_private_segment 0
		.amdhsa_system_sgpr_workgroup_id_x 1
		.amdhsa_system_sgpr_workgroup_id_y 0
		.amdhsa_system_sgpr_workgroup_id_z 0
		.amdhsa_system_sgpr_workgroup_info 0
		.amdhsa_system_vgpr_workitem_id 0
		.amdhsa_next_free_vgpr 154
		.amdhsa_next_free_sgpr 20
		.amdhsa_accum_offset 156
		.amdhsa_reserve_vcc 1
		.amdhsa_float_round_mode_32 0
		.amdhsa_float_round_mode_16_64 0
		.amdhsa_float_denorm_mode_32 3
		.amdhsa_float_denorm_mode_16_64 3
		.amdhsa_dx10_clamp 1
		.amdhsa_ieee_mode 1
		.amdhsa_fp16_overflow 0
		.amdhsa_tg_split 0
		.amdhsa_exception_fp_ieee_invalid_op 0
		.amdhsa_exception_fp_denorm_src 0
		.amdhsa_exception_fp_ieee_div_zero 0
		.amdhsa_exception_fp_ieee_overflow 0
		.amdhsa_exception_fp_ieee_underflow 0
		.amdhsa_exception_fp_ieee_inexact 0
		.amdhsa_exception_int_div_zero 0
	.end_amdhsa_kernel
	.text
.Lfunc_end0:
	.size	bluestein_single_back_len16384_dim1_half_op_CI_CI, .Lfunc_end0-bluestein_single_back_len16384_dim1_half_op_CI_CI
                                        ; -- End function
	.section	.AMDGPU.csdata,"",@progbits
; Kernel info:
; codeLenInByte = 34284
; NumSgprs: 26
; NumVgprs: 154
; NumAgprs: 0
; TotalNumVgprs: 154
; ScratchSize: 0
; MemoryBound: 0
; FloatMode: 240
; IeeeMode: 1
; LDSByteSize: 65536 bytes/workgroup (compile time only)
; SGPRBlocks: 3
; VGPRBlocks: 19
; NumSGPRsForWavesPerEU: 26
; NumVGPRsForWavesPerEU: 154
; AccumOffset: 156
; Occupancy: 3
; WaveLimiterHint : 1
; COMPUTE_PGM_RSRC2:SCRATCH_EN: 0
; COMPUTE_PGM_RSRC2:USER_SGPR: 2
; COMPUTE_PGM_RSRC2:TRAP_HANDLER: 0
; COMPUTE_PGM_RSRC2:TGID_X_EN: 1
; COMPUTE_PGM_RSRC2:TGID_Y_EN: 0
; COMPUTE_PGM_RSRC2:TGID_Z_EN: 0
; COMPUTE_PGM_RSRC2:TIDIG_COMP_CNT: 0
; COMPUTE_PGM_RSRC3_GFX90A:ACCUM_OFFSET: 38
; COMPUTE_PGM_RSRC3_GFX90A:TG_SPLIT: 0
	.text
	.p2alignl 6, 3212836864
	.fill 256, 4, 3212836864
	.type	__hip_cuid_e4a020a8d0c32f98,@object ; @__hip_cuid_e4a020a8d0c32f98
	.section	.bss,"aw",@nobits
	.globl	__hip_cuid_e4a020a8d0c32f98
__hip_cuid_e4a020a8d0c32f98:
	.byte	0                               ; 0x0
	.size	__hip_cuid_e4a020a8d0c32f98, 1

	.ident	"AMD clang version 19.0.0git (https://github.com/RadeonOpenCompute/llvm-project roc-6.4.0 25133 c7fe45cf4b819c5991fe208aaa96edf142730f1d)"
	.section	".note.GNU-stack","",@progbits
	.addrsig
	.addrsig_sym __hip_cuid_e4a020a8d0c32f98
	.amdgpu_metadata
---
amdhsa.kernels:
  - .agpr_count:     0
    .args:
      - .actual_access:  read_only
        .address_space:  global
        .offset:         0
        .size:           8
        .value_kind:     global_buffer
      - .actual_access:  read_only
        .address_space:  global
        .offset:         8
        .size:           8
        .value_kind:     global_buffer
      - .actual_access:  read_only
        .address_space:  global
        .offset:         16
        .size:           8
        .value_kind:     global_buffer
      - .actual_access:  read_only
        .address_space:  global
        .offset:         24
        .size:           8
        .value_kind:     global_buffer
      - .actual_access:  read_only
        .address_space:  global
        .offset:         32
        .size:           8
        .value_kind:     global_buffer
      - .offset:         40
        .size:           8
        .value_kind:     by_value
      - .address_space:  global
        .offset:         48
        .size:           8
        .value_kind:     global_buffer
      - .address_space:  global
        .offset:         56
        .size:           8
        .value_kind:     global_buffer
      - .address_space:  global
        .offset:         64
        .size:           8
        .value_kind:     global_buffer
      - .address_space:  global
        .offset:         72
        .size:           8
        .value_kind:     global_buffer
      - .offset:         80
        .size:           4
        .value_kind:     by_value
      - .address_space:  global
        .offset:         88
        .size:           8
        .value_kind:     global_buffer
      - .address_space:  global
        .offset:         96
        .size:           8
        .value_kind:     global_buffer
    .group_segment_fixed_size: 65536
    .kernarg_segment_align: 8
    .kernarg_segment_size: 104
    .language:       OpenCL C
    .language_version:
      - 2
      - 0
    .max_flat_workgroup_size: 512
    .name:           bluestein_single_back_len16384_dim1_half_op_CI_CI
    .private_segment_fixed_size: 0
    .sgpr_count:     26
    .sgpr_spill_count: 0
    .symbol:         bluestein_single_back_len16384_dim1_half_op_CI_CI.kd
    .uniform_work_group_size: 1
    .uses_dynamic_stack: false
    .vgpr_count:     154
    .vgpr_spill_count: 0
    .wavefront_size: 64
amdhsa.target:   amdgcn-amd-amdhsa--gfx950
amdhsa.version:
  - 1
  - 2
...

	.end_amdgpu_metadata
